;; amdgpu-corpus repo=pytorch/pytorch kind=compiled arch=gfx942 opt=O3
	.text
	.amdgcn_target "amdgcn-amd-amdhsa--gfx942"
	.amdhsa_code_object_version 6
	.section	.text._ZN7rocprim17ROCPRIM_304000_NS6detail31init_lookback_scan_state_kernelINS1_19lookback_scan_stateIiLb1ELb1EEEEEvT_jjPNS5_10value_typeE,"axG",@progbits,_ZN7rocprim17ROCPRIM_304000_NS6detail31init_lookback_scan_state_kernelINS1_19lookback_scan_stateIiLb1ELb1EEEEEvT_jjPNS5_10value_typeE,comdat
	.protected	_ZN7rocprim17ROCPRIM_304000_NS6detail31init_lookback_scan_state_kernelINS1_19lookback_scan_stateIiLb1ELb1EEEEEvT_jjPNS5_10value_typeE ; -- Begin function _ZN7rocprim17ROCPRIM_304000_NS6detail31init_lookback_scan_state_kernelINS1_19lookback_scan_stateIiLb1ELb1EEEEEvT_jjPNS5_10value_typeE
	.globl	_ZN7rocprim17ROCPRIM_304000_NS6detail31init_lookback_scan_state_kernelINS1_19lookback_scan_stateIiLb1ELb1EEEEEvT_jjPNS5_10value_typeE
	.p2align	8
	.type	_ZN7rocprim17ROCPRIM_304000_NS6detail31init_lookback_scan_state_kernelINS1_19lookback_scan_stateIiLb1ELb1EEEEEvT_jjPNS5_10value_typeE,@function
_ZN7rocprim17ROCPRIM_304000_NS6detail31init_lookback_scan_state_kernelINS1_19lookback_scan_stateIiLb1ELb1EEEEEvT_jjPNS5_10value_typeE: ; @_ZN7rocprim17ROCPRIM_304000_NS6detail31init_lookback_scan_state_kernelINS1_19lookback_scan_stateIiLb1ELb1EEEEEvT_jjPNS5_10value_typeE
; %bb.0:
	s_load_dword s3, s[0:1], 0x24
	s_load_dwordx2 s[8:9], s[0:1], 0x10
	s_load_dwordx4 s[4:7], s[0:1], 0x0
	s_waitcnt lgkmcnt(0)
	s_and_b32 s0, s3, 0xffff
	s_mul_i32 s2, s2, s0
	s_cmp_eq_u64 s[8:9], 0
	v_add_u32_e32 v0, s2, v0
	s_cbranch_scc1 .LBB0_9
; %bb.1:
	s_cmp_lt_u32 s7, s6
	s_cselect_b32 s0, s7, 0
	s_mov_b32 s3, 0
	v_cmp_eq_u32_e32 vcc, s0, v0
	s_and_saveexec_b64 s[0:1], vcc
	s_cbranch_execz .LBB0_8
; %bb.2:
	s_add_i32 s2, s7, 64
	s_lshl_b64 s[2:3], s[2:3], 3
	s_add_u32 s2, s4, s2
	s_addc_u32 s3, s5, s3
	v_mov_b32_e32 v2, 0
	global_load_dwordx2 v[4:5], v2, s[2:3] sc1
	s_waitcnt vmcnt(0)
	v_and_b32_e32 v3, 0xff, v5
	v_cmp_ne_u64_e32 vcc, 0, v[2:3]
	s_cbranch_vccnz .LBB0_7
; %bb.3:
	s_mov_b32 s7, 1
.LBB0_4:                                ; =>This Loop Header: Depth=1
                                        ;     Child Loop BB0_5 Depth 2
	s_max_u32 s10, s7, 1
.LBB0_5:                                ;   Parent Loop BB0_4 Depth=1
                                        ; =>  This Inner Loop Header: Depth=2
	s_add_i32 s10, s10, -1
	s_cmp_eq_u32 s10, 0
	s_sleep 1
	s_cbranch_scc0 .LBB0_5
; %bb.6:                                ;   in Loop: Header=BB0_4 Depth=1
	global_load_dwordx2 v[4:5], v2, s[2:3] sc1
	s_cmp_lt_u32 s7, 32
	s_cselect_b64 s[10:11], -1, 0
	s_cmp_lg_u64 s[10:11], 0
	s_addc_u32 s7, s7, 0
	s_waitcnt vmcnt(0)
	v_and_b32_e32 v3, 0xff, v5
	v_cmp_ne_u64_e32 vcc, 0, v[2:3]
	s_cbranch_vccz .LBB0_4
.LBB0_7:
	v_mov_b32_e32 v1, 0
	global_store_dword v1, v4, s[8:9]
.LBB0_8:
	s_or_b64 exec, exec, s[0:1]
.LBB0_9:
	v_cmp_gt_u32_e32 vcc, s6, v0
	s_and_saveexec_b64 s[0:1], vcc
	s_cbranch_execnz .LBB0_12
; %bb.10:
	s_or_b64 exec, exec, s[0:1]
	v_cmp_gt_u32_e32 vcc, 64, v0
	s_and_saveexec_b64 s[0:1], vcc
	s_cbranch_execnz .LBB0_13
.LBB0_11:
	s_endpgm
.LBB0_12:
	v_add_u32_e32 v2, 64, v0
	v_mov_b32_e32 v3, 0
	v_lshl_add_u64 v[4:5], v[2:3], 3, s[4:5]
	v_mov_b32_e32 v2, v3
	global_store_dwordx2 v[4:5], v[2:3], off
	s_or_b64 exec, exec, s[0:1]
	v_cmp_gt_u32_e32 vcc, 64, v0
	s_and_saveexec_b64 s[0:1], vcc
	s_cbranch_execz .LBB0_11
.LBB0_13:
	v_mov_b32_e32 v1, 0
	v_lshl_add_u64 v[2:3], v[0:1], 3, s[4:5]
	v_mov_b32_e32 v5, 0xff
	v_mov_b32_e32 v4, v1
	global_store_dwordx2 v[2:3], v[4:5], off
	s_endpgm
	.section	.rodata,"a",@progbits
	.p2align	6, 0x0
	.amdhsa_kernel _ZN7rocprim17ROCPRIM_304000_NS6detail31init_lookback_scan_state_kernelINS1_19lookback_scan_stateIiLb1ELb1EEEEEvT_jjPNS5_10value_typeE
		.amdhsa_group_segment_fixed_size 0
		.amdhsa_private_segment_fixed_size 0
		.amdhsa_kernarg_size 280
		.amdhsa_user_sgpr_count 2
		.amdhsa_user_sgpr_dispatch_ptr 0
		.amdhsa_user_sgpr_queue_ptr 0
		.amdhsa_user_sgpr_kernarg_segment_ptr 1
		.amdhsa_user_sgpr_dispatch_id 0
		.amdhsa_user_sgpr_kernarg_preload_length 0
		.amdhsa_user_sgpr_kernarg_preload_offset 0
		.amdhsa_user_sgpr_private_segment_size 0
		.amdhsa_uses_dynamic_stack 0
		.amdhsa_enable_private_segment 0
		.amdhsa_system_sgpr_workgroup_id_x 1
		.amdhsa_system_sgpr_workgroup_id_y 0
		.amdhsa_system_sgpr_workgroup_id_z 0
		.amdhsa_system_sgpr_workgroup_info 0
		.amdhsa_system_vgpr_workitem_id 0
		.amdhsa_next_free_vgpr 6
		.amdhsa_next_free_sgpr 12
		.amdhsa_accum_offset 8
		.amdhsa_reserve_vcc 1
		.amdhsa_float_round_mode_32 0
		.amdhsa_float_round_mode_16_64 0
		.amdhsa_float_denorm_mode_32 3
		.amdhsa_float_denorm_mode_16_64 3
		.amdhsa_dx10_clamp 1
		.amdhsa_ieee_mode 1
		.amdhsa_fp16_overflow 0
		.amdhsa_tg_split 0
		.amdhsa_exception_fp_ieee_invalid_op 0
		.amdhsa_exception_fp_denorm_src 0
		.amdhsa_exception_fp_ieee_div_zero 0
		.amdhsa_exception_fp_ieee_overflow 0
		.amdhsa_exception_fp_ieee_underflow 0
		.amdhsa_exception_fp_ieee_inexact 0
		.amdhsa_exception_int_div_zero 0
	.end_amdhsa_kernel
	.section	.text._ZN7rocprim17ROCPRIM_304000_NS6detail31init_lookback_scan_state_kernelINS1_19lookback_scan_stateIiLb1ELb1EEEEEvT_jjPNS5_10value_typeE,"axG",@progbits,_ZN7rocprim17ROCPRIM_304000_NS6detail31init_lookback_scan_state_kernelINS1_19lookback_scan_stateIiLb1ELb1EEEEEvT_jjPNS5_10value_typeE,comdat
.Lfunc_end0:
	.size	_ZN7rocprim17ROCPRIM_304000_NS6detail31init_lookback_scan_state_kernelINS1_19lookback_scan_stateIiLb1ELb1EEEEEvT_jjPNS5_10value_typeE, .Lfunc_end0-_ZN7rocprim17ROCPRIM_304000_NS6detail31init_lookback_scan_state_kernelINS1_19lookback_scan_stateIiLb1ELb1EEEEEvT_jjPNS5_10value_typeE
                                        ; -- End function
	.section	.AMDGPU.csdata,"",@progbits
; Kernel info:
; codeLenInByte = 320
; NumSgprs: 18
; NumVgprs: 6
; NumAgprs: 0
; TotalNumVgprs: 6
; ScratchSize: 0
; MemoryBound: 0
; FloatMode: 240
; IeeeMode: 1
; LDSByteSize: 0 bytes/workgroup (compile time only)
; SGPRBlocks: 2
; VGPRBlocks: 0
; NumSGPRsForWavesPerEU: 18
; NumVGPRsForWavesPerEU: 6
; AccumOffset: 8
; Occupancy: 8
; WaveLimiterHint : 0
; COMPUTE_PGM_RSRC2:SCRATCH_EN: 0
; COMPUTE_PGM_RSRC2:USER_SGPR: 2
; COMPUTE_PGM_RSRC2:TRAP_HANDLER: 0
; COMPUTE_PGM_RSRC2:TGID_X_EN: 1
; COMPUTE_PGM_RSRC2:TGID_Y_EN: 0
; COMPUTE_PGM_RSRC2:TGID_Z_EN: 0
; COMPUTE_PGM_RSRC2:TIDIG_COMP_CNT: 0
; COMPUTE_PGM_RSRC3_GFX90A:ACCUM_OFFSET: 1
; COMPUTE_PGM_RSRC3_GFX90A:TG_SPLIT: 0
	.section	.text._ZN7rocprim17ROCPRIM_304000_NS6detail31init_lookback_scan_state_kernelINS1_19lookback_scan_stateIiLb0ELb1EEEEEvT_jjPNS5_10value_typeE,"axG",@progbits,_ZN7rocprim17ROCPRIM_304000_NS6detail31init_lookback_scan_state_kernelINS1_19lookback_scan_stateIiLb0ELb1EEEEEvT_jjPNS5_10value_typeE,comdat
	.protected	_ZN7rocprim17ROCPRIM_304000_NS6detail31init_lookback_scan_state_kernelINS1_19lookback_scan_stateIiLb0ELb1EEEEEvT_jjPNS5_10value_typeE ; -- Begin function _ZN7rocprim17ROCPRIM_304000_NS6detail31init_lookback_scan_state_kernelINS1_19lookback_scan_stateIiLb0ELb1EEEEEvT_jjPNS5_10value_typeE
	.globl	_ZN7rocprim17ROCPRIM_304000_NS6detail31init_lookback_scan_state_kernelINS1_19lookback_scan_stateIiLb0ELb1EEEEEvT_jjPNS5_10value_typeE
	.p2align	8
	.type	_ZN7rocprim17ROCPRIM_304000_NS6detail31init_lookback_scan_state_kernelINS1_19lookback_scan_stateIiLb0ELb1EEEEEvT_jjPNS5_10value_typeE,@function
_ZN7rocprim17ROCPRIM_304000_NS6detail31init_lookback_scan_state_kernelINS1_19lookback_scan_stateIiLb0ELb1EEEEEvT_jjPNS5_10value_typeE: ; @_ZN7rocprim17ROCPRIM_304000_NS6detail31init_lookback_scan_state_kernelINS1_19lookback_scan_stateIiLb0ELb1EEEEEvT_jjPNS5_10value_typeE
; %bb.0:
	s_load_dword s3, s[0:1], 0x24
	s_load_dwordx2 s[8:9], s[0:1], 0x10
	s_load_dwordx4 s[4:7], s[0:1], 0x0
	s_waitcnt lgkmcnt(0)
	s_and_b32 s0, s3, 0xffff
	s_mul_i32 s2, s2, s0
	s_cmp_eq_u64 s[8:9], 0
	v_add_u32_e32 v0, s2, v0
	s_cbranch_scc1 .LBB1_6
; %bb.1:
	s_cmp_lt_u32 s7, s6
	s_cselect_b32 s0, s7, 0
	s_mov_b32 s3, 0
	v_cmp_eq_u32_e32 vcc, s0, v0
	s_and_saveexec_b64 s[0:1], vcc
	s_cbranch_execz .LBB1_5
; %bb.2:
	s_add_i32 s2, s7, 64
	s_lshl_b64 s[2:3], s[2:3], 3
	s_add_u32 s2, s4, s2
	s_addc_u32 s3, s5, s3
	v_mov_b32_e32 v4, 0
	global_load_dwordx2 v[2:3], v4, s[2:3] sc1
	s_waitcnt vmcnt(0)
	v_and_b32_e32 v5, 0xff, v3
	v_cmp_ne_u64_e32 vcc, 0, v[4:5]
	s_cbranch_vccnz .LBB1_4
.LBB1_3:                                ; =>This Inner Loop Header: Depth=1
	global_load_dwordx2 v[2:3], v4, s[2:3] sc1
	s_waitcnt vmcnt(0)
	v_and_b32_e32 v5, 0xff, v3
	v_cmp_eq_u64_e32 vcc, 0, v[4:5]
	s_cbranch_vccnz .LBB1_3
.LBB1_4:
	v_mov_b32_e32 v1, 0
	global_store_dword v1, v2, s[8:9]
.LBB1_5:
	s_or_b64 exec, exec, s[0:1]
.LBB1_6:
	v_cmp_gt_u32_e32 vcc, s6, v0
	s_and_saveexec_b64 s[0:1], vcc
	s_cbranch_execnz .LBB1_9
; %bb.7:
	s_or_b64 exec, exec, s[0:1]
	v_cmp_gt_u32_e32 vcc, 64, v0
	s_and_saveexec_b64 s[0:1], vcc
	s_cbranch_execnz .LBB1_10
.LBB1_8:
	s_endpgm
.LBB1_9:
	v_add_u32_e32 v2, 64, v0
	v_mov_b32_e32 v3, 0
	v_lshl_add_u64 v[4:5], v[2:3], 3, s[4:5]
	v_mov_b32_e32 v2, v3
	global_store_dwordx2 v[4:5], v[2:3], off
	s_or_b64 exec, exec, s[0:1]
	v_cmp_gt_u32_e32 vcc, 64, v0
	s_and_saveexec_b64 s[0:1], vcc
	s_cbranch_execz .LBB1_8
.LBB1_10:
	v_mov_b32_e32 v1, 0
	v_lshl_add_u64 v[2:3], v[0:1], 3, s[4:5]
	v_mov_b32_e32 v5, 0xff
	v_mov_b32_e32 v4, v1
	global_store_dwordx2 v[2:3], v[4:5], off
	s_endpgm
	.section	.rodata,"a",@progbits
	.p2align	6, 0x0
	.amdhsa_kernel _ZN7rocprim17ROCPRIM_304000_NS6detail31init_lookback_scan_state_kernelINS1_19lookback_scan_stateIiLb0ELb1EEEEEvT_jjPNS5_10value_typeE
		.amdhsa_group_segment_fixed_size 0
		.amdhsa_private_segment_fixed_size 0
		.amdhsa_kernarg_size 280
		.amdhsa_user_sgpr_count 2
		.amdhsa_user_sgpr_dispatch_ptr 0
		.amdhsa_user_sgpr_queue_ptr 0
		.amdhsa_user_sgpr_kernarg_segment_ptr 1
		.amdhsa_user_sgpr_dispatch_id 0
		.amdhsa_user_sgpr_kernarg_preload_length 0
		.amdhsa_user_sgpr_kernarg_preload_offset 0
		.amdhsa_user_sgpr_private_segment_size 0
		.amdhsa_uses_dynamic_stack 0
		.amdhsa_enable_private_segment 0
		.amdhsa_system_sgpr_workgroup_id_x 1
		.amdhsa_system_sgpr_workgroup_id_y 0
		.amdhsa_system_sgpr_workgroup_id_z 0
		.amdhsa_system_sgpr_workgroup_info 0
		.amdhsa_system_vgpr_workitem_id 0
		.amdhsa_next_free_vgpr 6
		.amdhsa_next_free_sgpr 10
		.amdhsa_accum_offset 8
		.amdhsa_reserve_vcc 1
		.amdhsa_float_round_mode_32 0
		.amdhsa_float_round_mode_16_64 0
		.amdhsa_float_denorm_mode_32 3
		.amdhsa_float_denorm_mode_16_64 3
		.amdhsa_dx10_clamp 1
		.amdhsa_ieee_mode 1
		.amdhsa_fp16_overflow 0
		.amdhsa_tg_split 0
		.amdhsa_exception_fp_ieee_invalid_op 0
		.amdhsa_exception_fp_denorm_src 0
		.amdhsa_exception_fp_ieee_div_zero 0
		.amdhsa_exception_fp_ieee_overflow 0
		.amdhsa_exception_fp_ieee_underflow 0
		.amdhsa_exception_fp_ieee_inexact 0
		.amdhsa_exception_int_div_zero 0
	.end_amdhsa_kernel
	.section	.text._ZN7rocprim17ROCPRIM_304000_NS6detail31init_lookback_scan_state_kernelINS1_19lookback_scan_stateIiLb0ELb1EEEEEvT_jjPNS5_10value_typeE,"axG",@progbits,_ZN7rocprim17ROCPRIM_304000_NS6detail31init_lookback_scan_state_kernelINS1_19lookback_scan_stateIiLb0ELb1EEEEEvT_jjPNS5_10value_typeE,comdat
.Lfunc_end1:
	.size	_ZN7rocprim17ROCPRIM_304000_NS6detail31init_lookback_scan_state_kernelINS1_19lookback_scan_stateIiLb0ELb1EEEEEvT_jjPNS5_10value_typeE, .Lfunc_end1-_ZN7rocprim17ROCPRIM_304000_NS6detail31init_lookback_scan_state_kernelINS1_19lookback_scan_stateIiLb0ELb1EEEEEvT_jjPNS5_10value_typeE
                                        ; -- End function
	.section	.AMDGPU.csdata,"",@progbits
; Kernel info:
; codeLenInByte = 280
; NumSgprs: 16
; NumVgprs: 6
; NumAgprs: 0
; TotalNumVgprs: 6
; ScratchSize: 0
; MemoryBound: 0
; FloatMode: 240
; IeeeMode: 1
; LDSByteSize: 0 bytes/workgroup (compile time only)
; SGPRBlocks: 1
; VGPRBlocks: 0
; NumSGPRsForWavesPerEU: 16
; NumVGPRsForWavesPerEU: 6
; AccumOffset: 8
; Occupancy: 8
; WaveLimiterHint : 0
; COMPUTE_PGM_RSRC2:SCRATCH_EN: 0
; COMPUTE_PGM_RSRC2:USER_SGPR: 2
; COMPUTE_PGM_RSRC2:TRAP_HANDLER: 0
; COMPUTE_PGM_RSRC2:TGID_X_EN: 1
; COMPUTE_PGM_RSRC2:TGID_Y_EN: 0
; COMPUTE_PGM_RSRC2:TGID_Z_EN: 0
; COMPUTE_PGM_RSRC2:TIDIG_COMP_CNT: 0
; COMPUTE_PGM_RSRC3_GFX90A:ACCUM_OFFSET: 1
; COMPUTE_PGM_RSRC3_GFX90A:TG_SPLIT: 0
	.section	.text._ZN7rocprim17ROCPRIM_304000_NS6detail20lookback_scan_kernelILNS1_25lookback_scan_determinismE0ELb0ENS1_19wrapped_scan_configINS0_14default_configEiEEPKiPiSt4plusIvEiiNS1_19lookback_scan_stateIiLb1ELb1EEEEEvT2_T3_mT5_T4_T7_jPT6_SK_bb,"axG",@progbits,_ZN7rocprim17ROCPRIM_304000_NS6detail20lookback_scan_kernelILNS1_25lookback_scan_determinismE0ELb0ENS1_19wrapped_scan_configINS0_14default_configEiEEPKiPiSt4plusIvEiiNS1_19lookback_scan_stateIiLb1ELb1EEEEEvT2_T3_mT5_T4_T7_jPT6_SK_bb,comdat
	.protected	_ZN7rocprim17ROCPRIM_304000_NS6detail20lookback_scan_kernelILNS1_25lookback_scan_determinismE0ELb0ENS1_19wrapped_scan_configINS0_14default_configEiEEPKiPiSt4plusIvEiiNS1_19lookback_scan_stateIiLb1ELb1EEEEEvT2_T3_mT5_T4_T7_jPT6_SK_bb ; -- Begin function _ZN7rocprim17ROCPRIM_304000_NS6detail20lookback_scan_kernelILNS1_25lookback_scan_determinismE0ELb0ENS1_19wrapped_scan_configINS0_14default_configEiEEPKiPiSt4plusIvEiiNS1_19lookback_scan_stateIiLb1ELb1EEEEEvT2_T3_mT5_T4_T7_jPT6_SK_bb
	.globl	_ZN7rocprim17ROCPRIM_304000_NS6detail20lookback_scan_kernelILNS1_25lookback_scan_determinismE0ELb0ENS1_19wrapped_scan_configINS0_14default_configEiEEPKiPiSt4plusIvEiiNS1_19lookback_scan_stateIiLb1ELb1EEEEEvT2_T3_mT5_T4_T7_jPT6_SK_bb
	.p2align	8
	.type	_ZN7rocprim17ROCPRIM_304000_NS6detail20lookback_scan_kernelILNS1_25lookback_scan_determinismE0ELb0ENS1_19wrapped_scan_configINS0_14default_configEiEEPKiPiSt4plusIvEiiNS1_19lookback_scan_stateIiLb1ELb1EEEEEvT2_T3_mT5_T4_T7_jPT6_SK_bb,@function
_ZN7rocprim17ROCPRIM_304000_NS6detail20lookback_scan_kernelILNS1_25lookback_scan_determinismE0ELb0ENS1_19wrapped_scan_configINS0_14default_configEiEEPKiPiSt4plusIvEiiNS1_19lookback_scan_stateIiLb1ELb1EEEEEvT2_T3_mT5_T4_T7_jPT6_SK_bb: ; @_ZN7rocprim17ROCPRIM_304000_NS6detail20lookback_scan_kernelILNS1_25lookback_scan_determinismE0ELb0ENS1_19wrapped_scan_configINS0_14default_configEiEEPKiPiSt4plusIvEiiNS1_19lookback_scan_stateIiLb1ELb1EEEEEvT2_T3_mT5_T4_T7_jPT6_SK_bb
; %bb.0:
	s_endpgm
	.section	.rodata,"a",@progbits
	.p2align	6, 0x0
	.amdhsa_kernel _ZN7rocprim17ROCPRIM_304000_NS6detail20lookback_scan_kernelILNS1_25lookback_scan_determinismE0ELb0ENS1_19wrapped_scan_configINS0_14default_configEiEEPKiPiSt4plusIvEiiNS1_19lookback_scan_stateIiLb1ELb1EEEEEvT2_T3_mT5_T4_T7_jPT6_SK_bb
		.amdhsa_group_segment_fixed_size 0
		.amdhsa_private_segment_fixed_size 0
		.amdhsa_kernarg_size 68
		.amdhsa_user_sgpr_count 2
		.amdhsa_user_sgpr_dispatch_ptr 0
		.amdhsa_user_sgpr_queue_ptr 0
		.amdhsa_user_sgpr_kernarg_segment_ptr 1
		.amdhsa_user_sgpr_dispatch_id 0
		.amdhsa_user_sgpr_kernarg_preload_length 0
		.amdhsa_user_sgpr_kernarg_preload_offset 0
		.amdhsa_user_sgpr_private_segment_size 0
		.amdhsa_uses_dynamic_stack 0
		.amdhsa_enable_private_segment 0
		.amdhsa_system_sgpr_workgroup_id_x 1
		.amdhsa_system_sgpr_workgroup_id_y 0
		.amdhsa_system_sgpr_workgroup_id_z 0
		.amdhsa_system_sgpr_workgroup_info 0
		.amdhsa_system_vgpr_workitem_id 0
		.amdhsa_next_free_vgpr 1
		.amdhsa_next_free_sgpr 0
		.amdhsa_accum_offset 4
		.amdhsa_reserve_vcc 0
		.amdhsa_float_round_mode_32 0
		.amdhsa_float_round_mode_16_64 0
		.amdhsa_float_denorm_mode_32 3
		.amdhsa_float_denorm_mode_16_64 3
		.amdhsa_dx10_clamp 1
		.amdhsa_ieee_mode 1
		.amdhsa_fp16_overflow 0
		.amdhsa_tg_split 0
		.amdhsa_exception_fp_ieee_invalid_op 0
		.amdhsa_exception_fp_denorm_src 0
		.amdhsa_exception_fp_ieee_div_zero 0
		.amdhsa_exception_fp_ieee_overflow 0
		.amdhsa_exception_fp_ieee_underflow 0
		.amdhsa_exception_fp_ieee_inexact 0
		.amdhsa_exception_int_div_zero 0
	.end_amdhsa_kernel
	.section	.text._ZN7rocprim17ROCPRIM_304000_NS6detail20lookback_scan_kernelILNS1_25lookback_scan_determinismE0ELb0ENS1_19wrapped_scan_configINS0_14default_configEiEEPKiPiSt4plusIvEiiNS1_19lookback_scan_stateIiLb1ELb1EEEEEvT2_T3_mT5_T4_T7_jPT6_SK_bb,"axG",@progbits,_ZN7rocprim17ROCPRIM_304000_NS6detail20lookback_scan_kernelILNS1_25lookback_scan_determinismE0ELb0ENS1_19wrapped_scan_configINS0_14default_configEiEEPKiPiSt4plusIvEiiNS1_19lookback_scan_stateIiLb1ELb1EEEEEvT2_T3_mT5_T4_T7_jPT6_SK_bb,comdat
.Lfunc_end2:
	.size	_ZN7rocprim17ROCPRIM_304000_NS6detail20lookback_scan_kernelILNS1_25lookback_scan_determinismE0ELb0ENS1_19wrapped_scan_configINS0_14default_configEiEEPKiPiSt4plusIvEiiNS1_19lookback_scan_stateIiLb1ELb1EEEEEvT2_T3_mT5_T4_T7_jPT6_SK_bb, .Lfunc_end2-_ZN7rocprim17ROCPRIM_304000_NS6detail20lookback_scan_kernelILNS1_25lookback_scan_determinismE0ELb0ENS1_19wrapped_scan_configINS0_14default_configEiEEPKiPiSt4plusIvEiiNS1_19lookback_scan_stateIiLb1ELb1EEEEEvT2_T3_mT5_T4_T7_jPT6_SK_bb
                                        ; -- End function
	.section	.AMDGPU.csdata,"",@progbits
; Kernel info:
; codeLenInByte = 4
; NumSgprs: 6
; NumVgprs: 0
; NumAgprs: 0
; TotalNumVgprs: 0
; ScratchSize: 0
; MemoryBound: 0
; FloatMode: 240
; IeeeMode: 1
; LDSByteSize: 0 bytes/workgroup (compile time only)
; SGPRBlocks: 0
; VGPRBlocks: 0
; NumSGPRsForWavesPerEU: 6
; NumVGPRsForWavesPerEU: 1
; AccumOffset: 4
; Occupancy: 8
; WaveLimiterHint : 0
; COMPUTE_PGM_RSRC2:SCRATCH_EN: 0
; COMPUTE_PGM_RSRC2:USER_SGPR: 2
; COMPUTE_PGM_RSRC2:TRAP_HANDLER: 0
; COMPUTE_PGM_RSRC2:TGID_X_EN: 1
; COMPUTE_PGM_RSRC2:TGID_Y_EN: 0
; COMPUTE_PGM_RSRC2:TGID_Z_EN: 0
; COMPUTE_PGM_RSRC2:TIDIG_COMP_CNT: 0
; COMPUTE_PGM_RSRC3_GFX90A:ACCUM_OFFSET: 0
; COMPUTE_PGM_RSRC3_GFX90A:TG_SPLIT: 0
	.section	.text._ZN7rocprim17ROCPRIM_304000_NS6detail20lookback_scan_kernelILNS1_25lookback_scan_determinismE0ELb0ENS1_19wrapped_scan_configINS0_14default_configEiEEPKiPiSt4plusIvEiiNS1_19lookback_scan_stateIiLb0ELb1EEEEEvT2_T3_mT5_T4_T7_jPT6_SK_bb,"axG",@progbits,_ZN7rocprim17ROCPRIM_304000_NS6detail20lookback_scan_kernelILNS1_25lookback_scan_determinismE0ELb0ENS1_19wrapped_scan_configINS0_14default_configEiEEPKiPiSt4plusIvEiiNS1_19lookback_scan_stateIiLb0ELb1EEEEEvT2_T3_mT5_T4_T7_jPT6_SK_bb,comdat
	.protected	_ZN7rocprim17ROCPRIM_304000_NS6detail20lookback_scan_kernelILNS1_25lookback_scan_determinismE0ELb0ENS1_19wrapped_scan_configINS0_14default_configEiEEPKiPiSt4plusIvEiiNS1_19lookback_scan_stateIiLb0ELb1EEEEEvT2_T3_mT5_T4_T7_jPT6_SK_bb ; -- Begin function _ZN7rocprim17ROCPRIM_304000_NS6detail20lookback_scan_kernelILNS1_25lookback_scan_determinismE0ELb0ENS1_19wrapped_scan_configINS0_14default_configEiEEPKiPiSt4plusIvEiiNS1_19lookback_scan_stateIiLb0ELb1EEEEEvT2_T3_mT5_T4_T7_jPT6_SK_bb
	.globl	_ZN7rocprim17ROCPRIM_304000_NS6detail20lookback_scan_kernelILNS1_25lookback_scan_determinismE0ELb0ENS1_19wrapped_scan_configINS0_14default_configEiEEPKiPiSt4plusIvEiiNS1_19lookback_scan_stateIiLb0ELb1EEEEEvT2_T3_mT5_T4_T7_jPT6_SK_bb
	.p2align	8
	.type	_ZN7rocprim17ROCPRIM_304000_NS6detail20lookback_scan_kernelILNS1_25lookback_scan_determinismE0ELb0ENS1_19wrapped_scan_configINS0_14default_configEiEEPKiPiSt4plusIvEiiNS1_19lookback_scan_stateIiLb0ELb1EEEEEvT2_T3_mT5_T4_T7_jPT6_SK_bb,@function
_ZN7rocprim17ROCPRIM_304000_NS6detail20lookback_scan_kernelILNS1_25lookback_scan_determinismE0ELb0ENS1_19wrapped_scan_configINS0_14default_configEiEEPKiPiSt4plusIvEiiNS1_19lookback_scan_stateIiLb0ELb1EEEEEvT2_T3_mT5_T4_T7_jPT6_SK_bb: ; @_ZN7rocprim17ROCPRIM_304000_NS6detail20lookback_scan_kernelILNS1_25lookback_scan_determinismE0ELb0ENS1_19wrapped_scan_configINS0_14default_configEiEEPKiPiSt4plusIvEiiNS1_19lookback_scan_stateIiLb0ELb1EEEEEvT2_T3_mT5_T4_T7_jPT6_SK_bb
; %bb.0:
	s_load_dword s3, s[0:1], 0x28
	s_load_dwordx4 s[8:11], s[0:1], 0x0
	s_load_dwordx2 s[4:5], s[0:1], 0x10
	s_mul_i32 s6, s2, 0x1500
	s_mov_b32 s7, 0
	s_waitcnt lgkmcnt(0)
	s_add_i32 s3, s3, -1
	s_mul_i32 s12, s3, 0x1500
	s_sub_u32 s20, s4, s12
	s_subb_u32 s21, s5, 0
	s_cmp_lg_u32 s2, s3
	s_cselect_b64 s[12:13], -1, 0
	s_lshl_b64 s[14:15], s[6:7], 2
	s_add_u32 s6, s8, s14
	s_addc_u32 s7, s9, s15
	s_mov_b64 s[4:5], -1
	s_and_b64 vcc, exec, s[12:13]
	v_lshlrev_b32_e32 v2, 2, v0
	s_cbranch_vccz .LBB3_2
; %bb.1:
	v_mov_b32_e32 v3, 0
	v_lshl_add_u64 v[4:5], s[6:7], 0, v[2:3]
	v_add_co_u32_e32 v6, vcc, 0x1000, v4
	global_load_dword v1, v2, s[6:7]
	global_load_dword v3, v2, s[6:7] offset:1024
	global_load_dword v10, v2, s[6:7] offset:2048
	;; [unrolled: 1-line block ×3, first 2 shown]
	v_addc_co_u32_e32 v7, vcc, 0, v5, vcc
	v_add_co_u32_e32 v8, vcc, 0x2000, v4
	s_mov_b64 s[4:5], 0
	s_nop 0
	v_addc_co_u32_e32 v9, vcc, 0, v5, vcc
	global_load_dword v12, v[6:7], off
	global_load_dword v13, v[6:7], off offset:1024
	global_load_dword v14, v[6:7], off offset:2048
	global_load_dword v15, v[6:7], off offset:3072
	global_load_dword v16, v[8:9], off
	global_load_dword v17, v[8:9], off offset:1024
	global_load_dword v18, v[8:9], off offset:2048
	global_load_dword v19, v[8:9], off offset:3072
	v_add_co_u32_e32 v6, vcc, 0x3000, v4
	s_nop 1
	v_addc_co_u32_e32 v7, vcc, 0, v5, vcc
	v_add_co_u32_e32 v8, vcc, 0x4000, v4
	s_nop 1
	v_addc_co_u32_e32 v9, vcc, 0, v5, vcc
	global_load_dword v20, v[6:7], off
	global_load_dword v21, v[6:7], off offset:1024
	global_load_dword v22, v[6:7], off offset:2048
	;; [unrolled: 1-line block ×3, first 2 shown]
	global_load_dword v24, v[8:9], off
	global_load_dword v25, v[8:9], off offset:1024
	global_load_dword v26, v[8:9], off offset:2048
	;; [unrolled: 1-line block ×3, first 2 shown]
	v_add_co_u32_e32 v4, vcc, 0x5000, v4
	s_nop 1
	v_addc_co_u32_e32 v5, vcc, 0, v5, vcc
	global_load_dword v4, v[4:5], off
	s_waitcnt vmcnt(19)
	ds_write2st64_b32 v2, v1, v3 offset1:4
	s_waitcnt vmcnt(17)
	ds_write2st64_b32 v2, v10, v11 offset0:8 offset1:12
	s_waitcnt vmcnt(15)
	ds_write2st64_b32 v2, v12, v13 offset0:16 offset1:20
	;; [unrolled: 2-line block ×9, first 2 shown]
	s_waitcnt vmcnt(0)
	ds_write_b32 v2, v4 offset:20480
	s_waitcnt lgkmcnt(0)
	s_barrier
.LBB3_2:
	s_andn2_b64 vcc, exec, s[4:5]
	v_cmp_gt_u32_e64 s[4:5], s20, v0
	s_cbranch_vccnz .LBB3_46
; %bb.3:
	s_load_dword s3, s[6:7], 0x0
	v_mov_b32_e32 v3, 0
	v_lshl_add_u64 v[4:5], s[6:7], 0, v[2:3]
	s_waitcnt lgkmcnt(0)
	v_mov_b32_e32 v1, s3
	s_and_saveexec_b64 s[6:7], s[4:5]
	s_cbranch_execz .LBB3_5
; %bb.4:
	global_load_dword v1, v[4:5], off
.LBB3_5:
	s_or_b64 exec, exec, s[6:7]
	v_or_b32_e32 v3, 0x100, v0
	v_cmp_gt_u32_e32 vcc, s20, v3
	v_mov_b32_e32 v3, s3
	s_and_saveexec_b64 s[4:5], vcc
	s_cbranch_execz .LBB3_7
; %bb.6:
	global_load_dword v3, v[4:5], off offset:1024
.LBB3_7:
	s_or_b64 exec, exec, s[4:5]
	v_or_b32_e32 v6, 0x200, v0
	v_cmp_gt_u32_e32 vcc, s20, v6
	v_mov_b32_e32 v6, s3
	s_and_saveexec_b64 s[4:5], vcc
	s_cbranch_execz .LBB3_9
; %bb.8:
	global_load_dword v6, v[4:5], off offset:2048
.LBB3_9:
	;; [unrolled: 9-line block ×3, first 2 shown]
	s_or_b64 exec, exec, s[4:5]
	v_or_b32_e32 v8, 0x400, v0
	v_cmp_gt_u32_e32 vcc, s20, v8
	v_mov_b32_e32 v8, s3
	s_and_saveexec_b64 s[4:5], vcc
	s_cbranch_execz .LBB3_13
; %bb.12:
	v_add_co_u32_e32 v8, vcc, 0x1000, v4
	s_nop 1
	v_addc_co_u32_e32 v9, vcc, 0, v5, vcc
	global_load_dword v8, v[8:9], off
.LBB3_13:
	s_or_b64 exec, exec, s[4:5]
	v_or_b32_e32 v9, 0x500, v0
	v_cmp_gt_u32_e32 vcc, s20, v9
	v_mov_b32_e32 v9, s3
	s_and_saveexec_b64 s[4:5], vcc
	s_cbranch_execz .LBB3_15
; %bb.14:
	v_add_co_u32_e32 v10, vcc, 0x1000, v4
	s_nop 1
	v_addc_co_u32_e32 v11, vcc, 0, v5, vcc
	global_load_dword v9, v[10:11], off offset:1024
.LBB3_15:
	s_or_b64 exec, exec, s[4:5]
	v_or_b32_e32 v10, 0x600, v0
	v_cmp_gt_u32_e32 vcc, s20, v10
	v_mov_b32_e32 v10, s3
	s_and_saveexec_b64 s[4:5], vcc
	s_cbranch_execz .LBB3_17
; %bb.16:
	v_add_co_u32_e32 v10, vcc, 0x1000, v4
	s_nop 1
	v_addc_co_u32_e32 v11, vcc, 0, v5, vcc
	global_load_dword v10, v[10:11], off offset:2048
.LBB3_17:
	s_or_b64 exec, exec, s[4:5]
	v_or_b32_e32 v11, 0x700, v0
	v_cmp_gt_u32_e32 vcc, s20, v11
	v_mov_b32_e32 v11, s3
	s_and_saveexec_b64 s[4:5], vcc
	s_cbranch_execz .LBB3_19
; %bb.18:
	v_add_co_u32_e32 v12, vcc, 0x1000, v4
	s_nop 1
	v_addc_co_u32_e32 v13, vcc, 0, v5, vcc
	global_load_dword v11, v[12:13], off offset:3072
.LBB3_19:
	s_or_b64 exec, exec, s[4:5]
	v_or_b32_e32 v12, 0x800, v0
	v_cmp_gt_u32_e32 vcc, s20, v12
	v_mov_b32_e32 v12, s3
	s_and_saveexec_b64 s[4:5], vcc
	s_cbranch_execz .LBB3_21
; %bb.20:
	v_add_co_u32_e32 v12, vcc, 0x2000, v4
	s_nop 1
	v_addc_co_u32_e32 v13, vcc, 0, v5, vcc
	global_load_dword v12, v[12:13], off
.LBB3_21:
	s_or_b64 exec, exec, s[4:5]
	v_or_b32_e32 v13, 0x900, v0
	v_cmp_gt_u32_e32 vcc, s20, v13
	v_mov_b32_e32 v13, s3
	s_and_saveexec_b64 s[4:5], vcc
	s_cbranch_execz .LBB3_23
; %bb.22:
	v_add_co_u32_e32 v14, vcc, 0x2000, v4
	s_nop 1
	v_addc_co_u32_e32 v15, vcc, 0, v5, vcc
	global_load_dword v13, v[14:15], off offset:1024
.LBB3_23:
	s_or_b64 exec, exec, s[4:5]
	v_or_b32_e32 v14, 0xa00, v0
	v_cmp_gt_u32_e32 vcc, s20, v14
	v_mov_b32_e32 v14, s3
	s_and_saveexec_b64 s[4:5], vcc
	s_cbranch_execz .LBB3_25
; %bb.24:
	v_add_co_u32_e32 v14, vcc, 0x2000, v4
	s_nop 1
	v_addc_co_u32_e32 v15, vcc, 0, v5, vcc
	global_load_dword v14, v[14:15], off offset:2048
.LBB3_25:
	s_or_b64 exec, exec, s[4:5]
	v_or_b32_e32 v15, 0xb00, v0
	v_cmp_gt_u32_e32 vcc, s20, v15
	v_mov_b32_e32 v15, s3
	s_and_saveexec_b64 s[4:5], vcc
	s_cbranch_execz .LBB3_27
; %bb.26:
	v_add_co_u32_e32 v16, vcc, 0x2000, v4
	s_nop 1
	v_addc_co_u32_e32 v17, vcc, 0, v5, vcc
	global_load_dword v15, v[16:17], off offset:3072
.LBB3_27:
	;; [unrolled: 48-line block ×4, first 2 shown]
	s_or_b64 exec, exec, s[4:5]
	v_or_b32_e32 v24, 0x1400, v0
	v_cmp_gt_u32_e32 vcc, s20, v24
	v_mov_b32_e32 v24, s3
	s_and_saveexec_b64 s[4:5], vcc
	s_cbranch_execz .LBB3_45
; %bb.44:
	v_add_co_u32_e32 v4, vcc, 0x5000, v4
	s_nop 1
	v_addc_co_u32_e32 v5, vcc, 0, v5, vcc
	global_load_dword v24, v[4:5], off
.LBB3_45:
	s_or_b64 exec, exec, s[4:5]
	s_waitcnt vmcnt(0)
	ds_write2st64_b32 v2, v1, v3 offset1:4
	ds_write2st64_b32 v2, v6, v7 offset0:8 offset1:12
	ds_write2st64_b32 v2, v8, v9 offset0:16 offset1:20
	;; [unrolled: 1-line block ×9, first 2 shown]
	ds_write_b32 v2, v24 offset:20480
	s_waitcnt lgkmcnt(0)
	s_barrier
.LBB3_46:
	v_mul_u32_u24_e32 v34, 21, v0
	v_lshlrev_b32_e32 v1, 2, v34
	ds_read2_b32 v[20:21], v1 offset1:1
	ds_read2_b32 v[22:23], v1 offset0:2 offset1:3
	ds_read2_b32 v[18:19], v1 offset0:4 offset1:5
	;; [unrolled: 1-line block ×9, first 2 shown]
	ds_read_b32 v1, v1 offset:80
	s_load_dwordx2 s[8:9], s[0:1], 0x20
	s_cmp_lg_u32 s2, 0
	v_mbcnt_lo_u32_b32 v36, -1, 0
	v_lshrrev_b32_e32 v3, 6, v0
	v_or_b32_e32 v35, 63, v0
	s_waitcnt lgkmcnt(0)
	s_barrier
	s_cbranch_scc0 .LBB3_73
; %bb.47:
	v_add3_u32 v24, v21, v20, v22
	v_add3_u32 v24, v24, v23, v18
	;; [unrolled: 1-line block ×9, first 2 shown]
	v_mbcnt_hi_u32_b32 v27, -1, v36
	v_add3_u32 v24, v24, v5, v1
	v_and_b32_e32 v25, 15, v27
	v_cmp_ne_u32_e32 vcc, 0, v25
	v_mov_b32_dpp v26, v24 row_shr:1 row_mask:0xf bank_mask:0xf
	s_nop 0
	v_cndmask_b32_e32 v26, 0, v26, vcc
	v_add_u32_e32 v24, v26, v24
	v_cmp_lt_u32_e32 vcc, 1, v25
	s_nop 0
	v_mov_b32_dpp v26, v24 row_shr:2 row_mask:0xf bank_mask:0xf
	v_cndmask_b32_e32 v26, 0, v26, vcc
	v_add_u32_e32 v24, v24, v26
	v_cmp_lt_u32_e32 vcc, 3, v25
	s_nop 0
	v_mov_b32_dpp v26, v24 row_shr:4 row_mask:0xf bank_mask:0xf
	;; [unrolled: 5-line block ×3, first 2 shown]
	v_cndmask_b32_e32 v25, 0, v26, vcc
	v_add_u32_e32 v24, v24, v25
	v_bfe_i32 v26, v27, 4, 1
	v_cmp_lt_u32_e32 vcc, 31, v27
	v_mov_b32_dpp v25, v24 row_bcast:15 row_mask:0xf bank_mask:0xf
	v_and_b32_e32 v25, v26, v25
	v_add_u32_e32 v24, v24, v25
	s_nop 1
	v_mov_b32_dpp v25, v24 row_bcast:31 row_mask:0xf bank_mask:0xf
	v_cndmask_b32_e32 v25, 0, v25, vcc
	v_add_u32_e32 v24, v24, v25
	v_cmp_eq_u32_e32 vcc, v35, v0
	s_and_saveexec_b64 s[4:5], vcc
	s_cbranch_execz .LBB3_49
; %bb.48:
	v_lshlrev_b32_e32 v25, 2, v3
	ds_write_b32 v25, v24
.LBB3_49:
	s_or_b64 exec, exec, s[4:5]
	v_cmp_gt_u32_e32 vcc, 4, v0
	s_waitcnt lgkmcnt(0)
	s_barrier
	s_and_saveexec_b64 s[4:5], vcc
	s_cbranch_execz .LBB3_51
; %bb.50:
	ds_read_b32 v25, v2
	v_and_b32_e32 v26, 3, v27
	v_cmp_ne_u32_e32 vcc, 0, v26
	s_waitcnt lgkmcnt(0)
	v_mov_b32_dpp v28, v25 row_shr:1 row_mask:0xf bank_mask:0xf
	v_cndmask_b32_e32 v28, 0, v28, vcc
	v_add_u32_e32 v25, v28, v25
	v_cmp_lt_u32_e32 vcc, 1, v26
	s_nop 0
	v_mov_b32_dpp v28, v25 row_shr:2 row_mask:0xf bank_mask:0xf
	v_cndmask_b32_e32 v26, 0, v28, vcc
	v_add_u32_e32 v25, v25, v26
	ds_write_b32 v2, v25
.LBB3_51:
	s_or_b64 exec, exec, s[4:5]
	v_cmp_gt_u32_e32 vcc, 64, v0
	v_cmp_lt_u32_e64 s[4:5], 63, v0
	s_waitcnt lgkmcnt(0)
	s_barrier
	s_waitcnt lgkmcnt(0)
                                        ; implicit-def: $vgpr37
	s_and_saveexec_b64 s[6:7], s[4:5]
	s_cbranch_execz .LBB3_53
; %bb.52:
	v_lshl_add_u32 v25, v3, 2, -4
	ds_read_b32 v37, v25
	s_waitcnt lgkmcnt(0)
	v_add_u32_e32 v24, v37, v24
.LBB3_53:
	s_or_b64 exec, exec, s[6:7]
	v_add_u32_e32 v25, -1, v27
	v_and_b32_e32 v26, 64, v27
	v_cmp_lt_i32_e64 s[4:5], v25, v26
	s_nop 1
	v_cndmask_b32_e64 v25, v25, v27, s[4:5]
	v_lshlrev_b32_e32 v25, 2, v25
	ds_bpermute_b32 v38, v25, v24
	v_cmp_eq_u32_e64 s[4:5], 0, v27
	s_and_saveexec_b64 s[6:7], vcc
	s_cbranch_execz .LBB3_72
; %bb.54:
	v_mov_b32_e32 v31, 0
	ds_read_b32 v24, v31 offset:12
	s_and_saveexec_b64 s[16:17], s[4:5]
	s_cbranch_execz .LBB3_56
; %bb.55:
	s_add_i32 s18, s2, 64
	s_mov_b32 s19, 0
	s_lshl_b64 s[18:19], s[18:19], 3
	s_add_u32 s18, s8, s18
	s_addc_u32 s19, s9, s19
	v_mov_b32_e32 v25, 1
	s_waitcnt lgkmcnt(0)
	global_store_dwordx2 v31, v[24:25], s[18:19] sc1
.LBB3_56:
	s_or_b64 exec, exec, s[16:17]
	v_xad_u32 v26, v27, -1, s2
	v_add_u32_e32 v30, 64, v26
	v_lshl_add_u64 v[32:33], v[30:31], 3, s[8:9]
	global_load_dwordx2 v[28:29], v[32:33], off sc1
	s_waitcnt vmcnt(0)
	v_cmp_eq_u16_sdwa s[18:19], v29, v31 src0_sel:BYTE_0 src1_sel:DWORD
	s_and_saveexec_b64 s[16:17], s[18:19]
	s_cbranch_execz .LBB3_60
; %bb.57:
	s_mov_b64 s[18:19], 0
	v_mov_b32_e32 v25, 0
.LBB3_58:                               ; =>This Inner Loop Header: Depth=1
	global_load_dwordx2 v[28:29], v[32:33], off sc1
	s_waitcnt vmcnt(0)
	v_cmp_ne_u16_sdwa s[22:23], v29, v25 src0_sel:BYTE_0 src1_sel:DWORD
	s_or_b64 s[18:19], s[22:23], s[18:19]
	s_andn2_b64 exec, exec, s[18:19]
	s_cbranch_execnz .LBB3_58
; %bb.59:
	s_or_b64 exec, exec, s[18:19]
.LBB3_60:
	s_or_b64 exec, exec, s[16:17]
	v_and_b32_e32 v47, 63, v27
	v_mov_b32_e32 v25, 2
	v_cmp_ne_u32_e32 vcc, 63, v47
	v_cmp_eq_u16_sdwa s[16:17], v29, v25 src0_sel:BYTE_0 src1_sel:DWORD
	v_lshlrev_b64 v[30:31], v27, -1
	v_addc_co_u32_e32 v39, vcc, 0, v27, vcc
	v_and_b32_e32 v32, s17, v31
	v_lshlrev_b32_e32 v39, 2, v39
	v_or_b32_e32 v32, 0x80000000, v32
	ds_bpermute_b32 v41, v39, v28
	v_and_b32_e32 v33, s16, v30
	v_ffbl_b32_e32 v32, v32
	v_add_u32_e32 v32, 32, v32
	v_ffbl_b32_e32 v33, v33
	v_min_u32_e32 v32, v33, v32
	v_add_u32_e32 v40, 1, v27
	v_cmp_le_u32_e32 vcc, v40, v32
	v_add_u32_e32 v42, 2, v27
	v_add_u32_e32 v44, 4, v27
	s_waitcnt lgkmcnt(0)
	v_cndmask_b32_e32 v33, 0, v41, vcc
	v_cmp_gt_u32_e32 vcc, 62, v47
	v_add_u32_e32 v28, v33, v28
	v_add_u32_e32 v46, 8, v27
	v_cndmask_b32_e64 v33, 0, 1, vcc
	v_lshlrev_b32_e32 v33, 1, v33
	v_add_lshl_u32 v41, v33, v27, 2
	ds_bpermute_b32 v33, v41, v28
	v_cmp_le_u32_e32 vcc, v42, v32
	v_add_u32_e32 v49, 16, v27
	v_add_u32_e32 v51, 32, v27
	s_waitcnt lgkmcnt(0)
	v_cndmask_b32_e32 v33, 0, v33, vcc
	v_cmp_gt_u32_e32 vcc, 60, v47
	v_add_u32_e32 v28, v28, v33
	s_nop 0
	v_cndmask_b32_e64 v33, 0, 1, vcc
	v_lshlrev_b32_e32 v33, 2, v33
	v_add_lshl_u32 v43, v33, v27, 2
	ds_bpermute_b32 v33, v43, v28
	v_cmp_le_u32_e32 vcc, v44, v32
	s_waitcnt lgkmcnt(0)
	s_nop 0
	v_cndmask_b32_e32 v33, 0, v33, vcc
	v_cmp_gt_u32_e32 vcc, 56, v47
	v_add_u32_e32 v28, v28, v33
	s_nop 0
	v_cndmask_b32_e64 v33, 0, 1, vcc
	v_lshlrev_b32_e32 v33, 3, v33
	v_add_lshl_u32 v45, v33, v27, 2
	ds_bpermute_b32 v33, v45, v28
	v_cmp_le_u32_e32 vcc, v46, v32
	s_waitcnt lgkmcnt(0)
	s_nop 0
	;; [unrolled: 11-line block ×4, first 2 shown]
	v_cndmask_b32_e32 v27, 0, v33, vcc
	v_add_u32_e32 v28, v28, v27
	v_mov_b32_e32 v27, 0
	s_branch .LBB3_62
.LBB3_61:                               ;   in Loop: Header=BB3_62 Depth=1
	s_or_b64 exec, exec, s[16:17]
	v_cmp_eq_u16_sdwa s[16:17], v29, v25 src0_sel:BYTE_0 src1_sel:DWORD
	ds_bpermute_b32 v52, v39, v28
	v_subrev_u32_e32 v26, 64, v26
	v_and_b32_e32 v32, s17, v31
	v_or_b32_e32 v32, 0x80000000, v32
	v_and_b32_e32 v33, s16, v30
	v_ffbl_b32_e32 v32, v32
	v_add_u32_e32 v32, 32, v32
	v_ffbl_b32_e32 v33, v33
	v_min_u32_e32 v32, v33, v32
	v_cmp_le_u32_e32 vcc, v40, v32
	s_waitcnt lgkmcnt(0)
	s_nop 0
	v_cndmask_b32_e32 v33, 0, v52, vcc
	v_add_u32_e32 v28, v33, v28
	ds_bpermute_b32 v33, v41, v28
	v_cmp_le_u32_e32 vcc, v42, v32
	s_waitcnt lgkmcnt(0)
	s_nop 0
	v_cndmask_b32_e32 v33, 0, v33, vcc
	v_add_u32_e32 v28, v28, v33
	ds_bpermute_b32 v33, v43, v28
	;; [unrolled: 6-line block ×5, first 2 shown]
	v_cmp_le_u32_e32 vcc, v51, v32
	s_waitcnt lgkmcnt(0)
	s_nop 0
	v_cndmask_b32_e32 v32, 0, v33, vcc
	v_add3_u32 v28, v32, v47, v28
.LBB3_62:                               ; =>This Loop Header: Depth=1
                                        ;     Child Loop BB3_65 Depth 2
	v_cmp_ne_u16_sdwa s[16:17], v29, v25 src0_sel:BYTE_0 src1_sel:DWORD
	v_mov_b32_e32 v47, v28
	s_nop 0
	v_cndmask_b32_e64 v29, 0, 1, s[16:17]
	;;#ASMSTART
	;;#ASMEND
	s_nop 0
	v_cmp_ne_u32_e32 vcc, 0, v29
	s_cmp_lg_u64 vcc, exec
	s_cbranch_scc1 .LBB3_67
; %bb.63:                               ;   in Loop: Header=BB3_62 Depth=1
	v_lshl_add_u64 v[32:33], v[26:27], 3, s[8:9]
	global_load_dwordx2 v[28:29], v[32:33], off sc1
	s_waitcnt vmcnt(0)
	v_cmp_eq_u16_sdwa s[18:19], v29, v27 src0_sel:BYTE_0 src1_sel:DWORD
	s_and_saveexec_b64 s[16:17], s[18:19]
	s_cbranch_execz .LBB3_61
; %bb.64:                               ;   in Loop: Header=BB3_62 Depth=1
	s_mov_b64 s[18:19], 0
.LBB3_65:                               ;   Parent Loop BB3_62 Depth=1
                                        ; =>  This Inner Loop Header: Depth=2
	global_load_dwordx2 v[28:29], v[32:33], off sc1
	s_waitcnt vmcnt(0)
	v_cmp_ne_u16_sdwa s[22:23], v29, v27 src0_sel:BYTE_0 src1_sel:DWORD
	s_or_b64 s[18:19], s[22:23], s[18:19]
	s_andn2_b64 exec, exec, s[18:19]
	s_cbranch_execnz .LBB3_65
; %bb.66:                               ;   in Loop: Header=BB3_62 Depth=1
	s_or_b64 exec, exec, s[18:19]
	s_branch .LBB3_61
.LBB3_67:                               ;   in Loop: Header=BB3_62 Depth=1
                                        ; implicit-def: $vgpr28
                                        ; implicit-def: $vgpr29
	s_cbranch_execz .LBB3_62
; %bb.68:
	s_and_saveexec_b64 s[16:17], s[4:5]
	s_cbranch_execz .LBB3_70
; %bb.69:
	s_add_i32 s2, s2, 64
	s_mov_b32 s3, 0
	s_lshl_b64 s[2:3], s[2:3], 3
	s_add_u32 s2, s8, s2
	s_addc_u32 s3, s9, s3
	v_mov_b32_e32 v26, 0
	v_add_u32_e32 v24, v47, v24
	v_mov_b32_e32 v25, 2
	global_store_dwordx2 v26, v[24:25], s[2:3] sc1
.LBB3_70:
	s_or_b64 exec, exec, s[16:17]
	v_cmp_eq_u32_e32 vcc, 0, v0
	s_and_b64 exec, exec, vcc
	s_cbranch_execz .LBB3_72
; %bb.71:
	v_mov_b32_e32 v24, 0
	ds_write_b32 v24, v47 offset:12
.LBB3_72:
	s_or_b64 exec, exec, s[6:7]
	v_mov_b32_e32 v24, 0
	s_waitcnt lgkmcnt(0)
	s_barrier
	ds_read_b32 v24, v24 offset:12
	v_cndmask_b32_e64 v25, v38, v37, s[4:5]
	v_cmp_ne_u32_e32 vcc, 0, v0
	s_nop 1
	v_cndmask_b32_e32 v25, 0, v25, vcc
	s_waitcnt lgkmcnt(0)
	v_add3_u32 v24, v25, v20, v24
	s_load_dwordx4 s[4:7], s[0:1], 0x30
	s_branch .LBB3_85
.LBB3_73:
                                        ; implicit-def: $vgpr24
	s_load_dwordx4 s[4:7], s[0:1], 0x30
	s_cbranch_execz .LBB3_85
; %bb.74:
	s_load_dword s2, s[0:1], 0x40
	v_cmp_eq_u32_e32 vcc, 0, v0
	s_waitcnt lgkmcnt(0)
	s_bitcmp1_b32 s2, 0
	s_cselect_b64 s[2:3], -1, 0
	s_and_b64 s[16:17], vcc, s[2:3]
	s_and_saveexec_b64 s[2:3], s[16:17]
	s_cbranch_execz .LBB3_76
; %bb.75:
	s_load_dword s4, s[4:5], 0x0
	s_waitcnt lgkmcnt(0)
	v_add_u32_e32 v20, s4, v20
.LBB3_76:
	s_or_b64 exec, exec, s[2:3]
	v_add3_u32 v24, v22, v21, v23
	v_add3_u32 v24, v24, v18, v19
	v_add3_u32 v24, v24, v16, v17
	v_add3_u32 v24, v24, v14, v15
	v_add3_u32 v24, v24, v12, v13
	v_add3_u32 v24, v24, v10, v11
	v_add3_u32 v24, v24, v8, v9
	v_add3_u32 v24, v24, v6, v7
	v_add3_u32 v24, v24, v4, v5
	v_add3_u32 v25, v24, v1, v20
	v_mbcnt_hi_u32_b32 v24, -1, v36
	v_and_b32_e32 v26, 15, v24
	v_mov_b32_dpp v27, v25 row_shr:1 row_mask:0xf bank_mask:0xf
	v_cmp_ne_u32_e64 s[2:3], 0, v26
	s_nop 1
	v_cndmask_b32_e64 v27, 0, v27, s[2:3]
	v_add_u32_e32 v25, v25, v27
	v_cmp_lt_u32_e64 s[2:3], 1, v26
	s_nop 0
	v_mov_b32_dpp v27, v25 row_shr:2 row_mask:0xf bank_mask:0xf
	v_cndmask_b32_e64 v27, 0, v27, s[2:3]
	v_add_u32_e32 v25, v25, v27
	v_cmp_lt_u32_e64 s[2:3], 3, v26
	s_nop 0
	v_mov_b32_dpp v27, v25 row_shr:4 row_mask:0xf bank_mask:0xf
	;; [unrolled: 5-line block ×3, first 2 shown]
	v_cndmask_b32_e64 v26, 0, v27, s[2:3]
	v_add_u32_e32 v25, v25, v26
	v_bfe_i32 v27, v24, 4, 1
	v_cmp_lt_u32_e64 s[2:3], 31, v24
	v_mov_b32_dpp v26, v25 row_bcast:15 row_mask:0xf bank_mask:0xf
	v_and_b32_e32 v26, v27, v26
	v_add_u32_e32 v25, v25, v26
	s_nop 1
	v_mov_b32_dpp v26, v25 row_bcast:31 row_mask:0xf bank_mask:0xf
	v_cndmask_b32_e64 v26, 0, v26, s[2:3]
	v_add_u32_e32 v25, v25, v26
	v_cmp_eq_u32_e64 s[2:3], v35, v0
	s_and_saveexec_b64 s[4:5], s[2:3]
	s_cbranch_execz .LBB3_78
; %bb.77:
	v_lshlrev_b32_e32 v26, 2, v3
	ds_write_b32 v26, v25
.LBB3_78:
	s_or_b64 exec, exec, s[4:5]
	v_cmp_gt_u32_e64 s[2:3], 4, v0
	s_waitcnt lgkmcnt(0)
	s_barrier
	s_and_saveexec_b64 s[4:5], s[2:3]
	s_cbranch_execz .LBB3_80
; %bb.79:
	ds_read_b32 v26, v2
	v_and_b32_e32 v27, 3, v24
	v_cmp_ne_u32_e64 s[2:3], 0, v27
	s_waitcnt lgkmcnt(0)
	v_mov_b32_dpp v28, v26 row_shr:1 row_mask:0xf bank_mask:0xf
	v_cndmask_b32_e64 v28, 0, v28, s[2:3]
	v_add_u32_e32 v26, v28, v26
	v_cmp_lt_u32_e64 s[2:3], 1, v27
	s_nop 0
	v_mov_b32_dpp v28, v26 row_shr:2 row_mask:0xf bank_mask:0xf
	v_cndmask_b32_e64 v27, 0, v28, s[2:3]
	v_add_u32_e32 v26, v26, v27
	ds_write_b32 v2, v26
.LBB3_80:
	s_or_b64 exec, exec, s[4:5]
	v_cmp_lt_u32_e64 s[2:3], 63, v0
	s_waitcnt lgkmcnt(0)
	s_barrier
	s_waitcnt lgkmcnt(0)
                                        ; implicit-def: $vgpr26
	s_and_saveexec_b64 s[4:5], s[2:3]
	s_cbranch_execz .LBB3_82
; %bb.81:
	v_lshl_add_u32 v3, v3, 2, -4
	ds_read_b32 v26, v3
	s_waitcnt lgkmcnt(0)
	v_add_u32_e32 v25, v26, v25
.LBB3_82:
	s_or_b64 exec, exec, s[4:5]
	v_add_u32_e32 v3, -1, v24
	v_and_b32_e32 v27, 64, v24
	v_cmp_lt_i32_e64 s[2:3], v3, v27
	s_nop 1
	v_cndmask_b32_e64 v3, v3, v24, s[2:3]
	v_lshlrev_b32_e32 v3, 2, v3
	ds_bpermute_b32 v3, v3, v25
	v_cmp_eq_u32_e64 s[2:3], 0, v24
	s_waitcnt lgkmcnt(0)
	s_nop 0
	v_cndmask_b32_e64 v3, v3, v26, s[2:3]
	v_cndmask_b32_e64 v3, v3, 0, vcc
	s_and_saveexec_b64 s[2:3], vcc
	s_cbranch_execz .LBB3_84
; %bb.83:
	v_mov_b32_e32 v26, 0
	ds_read_b32 v24, v26 offset:12
	v_mov_b32_e32 v25, 2
	s_waitcnt lgkmcnt(0)
	global_store_dwordx2 v26, v[24:25], s[8:9] offset:512 sc1
.LBB3_84:
	s_or_b64 exec, exec, s[2:3]
	v_add_u32_e32 v24, v3, v20
.LBB3_85:
	v_add_u32_e32 v20, v24, v21
	v_add_u32_e32 v21, v20, v22
	;; [unrolled: 1-line block ×19, first 2 shown]
	s_add_u32 s2, s10, s14
	v_add_u32_e32 v1, v5, v1
	s_addc_u32 s3, s11, s15
	s_waitcnt lgkmcnt(0)
	s_mov_b64 s[4:5], -1
	s_and_b64 vcc, exec, s[12:13]
	s_barrier
	s_cbranch_vccz .LBB3_87
; %bb.86:
	v_mul_u32_u24_e32 v3, 0x54, v0
	s_movk_i32 s4, 0x54
	ds_write2_b32 v3, v24, v20 offset1:1
	ds_write2_b32 v3, v21, v22 offset0:2 offset1:3
	ds_write2_b32 v3, v18, v19 offset0:4 offset1:5
	;; [unrolled: 1-line block ×9, first 2 shown]
	ds_write_b32 v3, v1 offset:80
	v_mul_i32_i24_e32 v3, 0xffffffb0, v0
	v_mad_u32_u24 v3, v0, s4, v3
	s_waitcnt lgkmcnt(0)
	s_barrier
	ds_read2st64_b32 v[26:27], v3 offset1:4
	ds_read2st64_b32 v[28:29], v3 offset0:8 offset1:12
	ds_read2st64_b32 v[30:31], v3 offset0:16 offset1:20
	;; [unrolled: 1-line block ×9, first 2 shown]
	ds_read_b32 v23, v3 offset:20480
	v_mov_b32_e32 v3, 0
	v_lshl_add_u64 v[48:49], s[2:3], 0, v[2:3]
	s_movk_i32 s4, 0x1000
	s_waitcnt lgkmcnt(10)
	global_store_dword v2, v26, s[2:3]
	global_store_dword v2, v27, s[2:3] offset:1024
	s_waitcnt lgkmcnt(9)
	global_store_dword v2, v28, s[2:3] offset:2048
	global_store_dword v2, v29, s[2:3] offset:3072
	v_add_co_u32_e32 v26, vcc, s4, v48
	s_movk_i32 s4, 0x2000
	s_nop 0
	v_addc_co_u32_e32 v27, vcc, 0, v49, vcc
	v_add_co_u32_e32 v28, vcc, s4, v48
	s_movk_i32 s4, 0x3000
	s_nop 0
	v_addc_co_u32_e32 v29, vcc, 0, v49, vcc
	s_waitcnt lgkmcnt(8)
	global_store_dword v[28:29], v30, off offset:-4096
	global_store_dword v[26:27], v31, off offset:1024
	s_waitcnt lgkmcnt(7)
	global_store_dword v[26:27], v32, off offset:2048
	global_store_dword v[26:27], v33, off offset:3072
	s_waitcnt lgkmcnt(6)
	global_store_dword v[28:29], v36, off
	global_store_dword v[28:29], v37, off offset:1024
	s_waitcnt lgkmcnt(5)
	global_store_dword v[28:29], v38, off offset:2048
	global_store_dword v[28:29], v39, off offset:3072
	v_add_co_u32_e32 v26, vcc, s4, v48
	s_mov_b64 s[4:5], 0
	s_nop 0
	v_addc_co_u32_e32 v27, vcc, 0, v49, vcc
	s_waitcnt lgkmcnt(4)
	global_store_dword v[26:27], v40, off
	global_store_dword v[26:27], v41, off offset:1024
	s_waitcnt lgkmcnt(3)
	global_store_dword v[26:27], v42, off offset:2048
	global_store_dword v[26:27], v43, off offset:3072
	v_add_co_u32_e32 v26, vcc, 0x4000, v48
	s_nop 1
	v_addc_co_u32_e32 v27, vcc, 0, v49, vcc
	s_waitcnt lgkmcnt(2)
	global_store_dword v[26:27], v44, off
	global_store_dword v[26:27], v45, off offset:1024
	s_waitcnt lgkmcnt(1)
	global_store_dword v[26:27], v46, off offset:2048
	global_store_dword v[26:27], v47, off offset:3072
	v_add_co_u32_e32 v26, vcc, 0x5000, v48
	s_nop 1
	v_addc_co_u32_e32 v27, vcc, 0, v49, vcc
	s_waitcnt lgkmcnt(0)
	global_store_dword v[26:27], v23, off
.LBB3_87:
	s_andn2_b64 vcc, exec, s[4:5]
	s_cbranch_vccnz .LBB3_208
; %bb.88:
	v_mul_u32_u24_e32 v3, 0x54, v0
	s_movk_i32 s4, 0x54
	ds_write2_b32 v3, v24, v20 offset1:1
	ds_write2_b32 v3, v21, v22 offset0:2 offset1:3
	ds_write2_b32 v3, v18, v19 offset0:4 offset1:5
	;; [unrolled: 1-line block ×9, first 2 shown]
	ds_write_b32 v3, v1 offset:80
	v_mul_i32_i24_e32 v1, 0xffffffb0, v0
	v_mad_u32_u24 v1, v0, s4, v1
	s_waitcnt lgkmcnt(0)
	s_barrier
	ds_read2st64_b32 v[6:7], v1 offset1:4
	ds_read2st64_b32 v[8:9], v1 offset0:8 offset1:12
	ds_read2st64_b32 v[10:11], v1 offset0:16 offset1:20
	;; [unrolled: 1-line block ×9, first 2 shown]
	ds_read_b32 v26, v1 offset:20480
	v_mov_b32_e32 v3, 0
	v_lshl_add_u64 v[24:25], s[2:3], 0, v[2:3]
	v_cmp_gt_u32_e32 vcc, s20, v0
	s_and_saveexec_b64 s[2:3], vcc
	s_cbranch_execz .LBB3_90
; %bb.89:
	s_waitcnt lgkmcnt(10)
	global_store_dword v[24:25], v6, off
.LBB3_90:
	s_or_b64 exec, exec, s[2:3]
	v_or_b32_e32 v1, 0x100, v0
	v_cmp_gt_u32_e32 vcc, s20, v1
	s_and_saveexec_b64 s[2:3], vcc
	s_cbranch_execz .LBB3_92
; %bb.91:
	s_waitcnt lgkmcnt(10)
	global_store_dword v[24:25], v7, off offset:1024
.LBB3_92:
	s_or_b64 exec, exec, s[2:3]
	v_or_b32_e32 v1, 0x200, v0
	v_cmp_gt_u32_e32 vcc, s20, v1
	s_and_saveexec_b64 s[2:3], vcc
	s_cbranch_execz .LBB3_94
; %bb.93:
	s_waitcnt lgkmcnt(9)
	global_store_dword v[24:25], v8, off offset:2048
.LBB3_94:
	;; [unrolled: 9-line block ×3, first 2 shown]
	s_or_b64 exec, exec, s[2:3]
	v_or_b32_e32 v1, 0x400, v0
	v_cmp_gt_u32_e32 vcc, s20, v1
	s_and_saveexec_b64 s[2:3], vcc
	s_cbranch_execz .LBB3_98
; %bb.97:
	v_add_co_u32_e32 v28, vcc, 0x1000, v24
	s_nop 1
	v_addc_co_u32_e32 v29, vcc, 0, v25, vcc
	s_waitcnt lgkmcnt(8)
	global_store_dword v[28:29], v10, off
.LBB3_98:
	s_or_b64 exec, exec, s[2:3]
	v_or_b32_e32 v1, 0x500, v0
	v_cmp_gt_u32_e32 vcc, s20, v1
	s_and_saveexec_b64 s[2:3], vcc
	s_cbranch_execz .LBB3_100
; %bb.99:
	v_add_co_u32_e32 v28, vcc, 0x1000, v24
	s_nop 1
	v_addc_co_u32_e32 v29, vcc, 0, v25, vcc
	s_waitcnt lgkmcnt(8)
	global_store_dword v[28:29], v11, off offset:1024
.LBB3_100:
	s_or_b64 exec, exec, s[2:3]
	v_or_b32_e32 v1, 0x600, v0
	v_cmp_gt_u32_e32 vcc, s20, v1
	s_and_saveexec_b64 s[2:3], vcc
	s_cbranch_execz .LBB3_102
; %bb.101:
	v_add_co_u32_e32 v28, vcc, 0x1000, v24
	s_nop 1
	v_addc_co_u32_e32 v29, vcc, 0, v25, vcc
	s_waitcnt lgkmcnt(7)
	global_store_dword v[28:29], v16, off offset:2048
.LBB3_102:
	s_or_b64 exec, exec, s[2:3]
	v_or_b32_e32 v1, 0x700, v0
	v_cmp_gt_u32_e32 vcc, s20, v1
	s_and_saveexec_b64 s[2:3], vcc
	s_cbranch_execz .LBB3_104
; %bb.103:
	v_add_co_u32_e32 v28, vcc, 0x1000, v24
	s_nop 1
	v_addc_co_u32_e32 v29, vcc, 0, v25, vcc
	s_waitcnt lgkmcnt(7)
	global_store_dword v[28:29], v17, off offset:3072
.LBB3_104:
	s_or_b64 exec, exec, s[2:3]
	v_or_b32_e32 v1, 0x800, v0
	v_cmp_gt_u32_e32 vcc, s20, v1
	s_and_saveexec_b64 s[2:3], vcc
	s_cbranch_execz .LBB3_106
; %bb.105:
	v_add_co_u32_e32 v28, vcc, 0x2000, v24
	s_nop 1
	v_addc_co_u32_e32 v29, vcc, 0, v25, vcc
	s_waitcnt lgkmcnt(6)
	global_store_dword v[28:29], v12, off
.LBB3_106:
	s_or_b64 exec, exec, s[2:3]
	v_or_b32_e32 v1, 0x900, v0
	v_cmp_gt_u32_e32 vcc, s20, v1
	s_and_saveexec_b64 s[2:3], vcc
	s_cbranch_execz .LBB3_108
; %bb.107:
	v_add_co_u32_e32 v28, vcc, 0x2000, v24
	s_nop 1
	v_addc_co_u32_e32 v29, vcc, 0, v25, vcc
	s_waitcnt lgkmcnt(6)
	global_store_dword v[28:29], v13, off offset:1024
.LBB3_108:
	s_or_b64 exec, exec, s[2:3]
	v_or_b32_e32 v1, 0xa00, v0
	v_cmp_gt_u32_e32 vcc, s20, v1
	s_and_saveexec_b64 s[2:3], vcc
	s_cbranch_execz .LBB3_110
; %bb.109:
	v_add_co_u32_e32 v28, vcc, 0x2000, v24
	s_nop 1
	v_addc_co_u32_e32 v29, vcc, 0, v25, vcc
	s_waitcnt lgkmcnt(5)
	global_store_dword v[28:29], v4, off offset:2048
.LBB3_110:
	s_or_b64 exec, exec, s[2:3]
	v_or_b32_e32 v1, 0xb00, v0
	v_cmp_gt_u32_e32 vcc, s20, v1
	s_and_saveexec_b64 s[2:3], vcc
	s_cbranch_execz .LBB3_112
; %bb.111:
	v_add_co_u32_e32 v28, vcc, 0x2000, v24
	s_nop 1
	v_addc_co_u32_e32 v29, vcc, 0, v25, vcc
	s_waitcnt lgkmcnt(5)
	global_store_dword v[28:29], v5, off offset:3072
.LBB3_112:
	s_or_b64 exec, exec, s[2:3]
	v_or_b32_e32 v1, 0xc00, v0
	v_cmp_gt_u32_e32 vcc, s20, v1
	s_and_saveexec_b64 s[2:3], vcc
	s_cbranch_execz .LBB3_114
; %bb.113:
	v_add_co_u32_e32 v28, vcc, 0x3000, v24
	s_nop 1
	v_addc_co_u32_e32 v29, vcc, 0, v25, vcc
	s_waitcnt lgkmcnt(4)
	global_store_dword v[28:29], v14, off
.LBB3_114:
	s_or_b64 exec, exec, s[2:3]
	v_or_b32_e32 v1, 0xd00, v0
	v_cmp_gt_u32_e32 vcc, s20, v1
	s_and_saveexec_b64 s[2:3], vcc
	s_cbranch_execz .LBB3_116
; %bb.115:
	v_add_co_u32_e32 v28, vcc, 0x3000, v24
	s_nop 1
	v_addc_co_u32_e32 v29, vcc, 0, v25, vcc
	s_waitcnt lgkmcnt(4)
	global_store_dword v[28:29], v15, off offset:1024
.LBB3_116:
	s_or_b64 exec, exec, s[2:3]
	v_or_b32_e32 v1, 0xe00, v0
	v_cmp_gt_u32_e32 vcc, s20, v1
	s_and_saveexec_b64 s[2:3], vcc
	s_cbranch_execz .LBB3_118
; %bb.117:
	v_add_co_u32_e32 v28, vcc, 0x3000, v24
	s_nop 1
	v_addc_co_u32_e32 v29, vcc, 0, v25, vcc
	s_waitcnt lgkmcnt(3)
	global_store_dword v[28:29], v18, off offset:2048
.LBB3_118:
	s_or_b64 exec, exec, s[2:3]
	v_or_b32_e32 v1, 0xf00, v0
	v_cmp_gt_u32_e32 vcc, s20, v1
	s_and_saveexec_b64 s[2:3], vcc
	s_cbranch_execz .LBB3_120
; %bb.119:
	v_add_co_u32_e32 v28, vcc, 0x3000, v24
	s_nop 1
	v_addc_co_u32_e32 v29, vcc, 0, v25, vcc
	s_waitcnt lgkmcnt(3)
	global_store_dword v[28:29], v19, off offset:3072
.LBB3_120:
	s_or_b64 exec, exec, s[2:3]
	v_or_b32_e32 v1, 0x1000, v0
	v_cmp_gt_u32_e32 vcc, s20, v1
	s_and_saveexec_b64 s[2:3], vcc
	s_cbranch_execz .LBB3_122
; %bb.121:
	v_add_co_u32_e32 v28, vcc, 0x4000, v24
	s_nop 1
	v_addc_co_u32_e32 v29, vcc, 0, v25, vcc
	s_waitcnt lgkmcnt(2)
	global_store_dword v[28:29], v22, off
.LBB3_122:
	s_or_b64 exec, exec, s[2:3]
	v_or_b32_e32 v1, 0x1100, v0
	v_cmp_gt_u32_e32 vcc, s20, v1
	s_and_saveexec_b64 s[2:3], vcc
	s_cbranch_execz .LBB3_124
; %bb.123:
	v_add_co_u32_e32 v28, vcc, 0x4000, v24
	s_nop 1
	v_addc_co_u32_e32 v29, vcc, 0, v25, vcc
	s_waitcnt lgkmcnt(2)
	global_store_dword v[28:29], v23, off offset:1024
.LBB3_124:
	s_or_b64 exec, exec, s[2:3]
	v_or_b32_e32 v1, 0x1200, v0
	v_cmp_gt_u32_e32 vcc, s20, v1
	s_and_saveexec_b64 s[2:3], vcc
	s_cbranch_execz .LBB3_126
; %bb.125:
	v_add_co_u32_e32 v28, vcc, 0x4000, v24
	s_nop 1
	v_addc_co_u32_e32 v29, vcc, 0, v25, vcc
	s_waitcnt lgkmcnt(1)
	global_store_dword v[28:29], v20, off offset:2048
.LBB3_126:
	s_or_b64 exec, exec, s[2:3]
	v_or_b32_e32 v1, 0x1300, v0
	v_cmp_gt_u32_e32 vcc, s20, v1
	s_and_saveexec_b64 s[2:3], vcc
	s_cbranch_execz .LBB3_128
; %bb.127:
	v_add_co_u32_e32 v28, vcc, 0x4000, v24
	s_nop 1
	v_addc_co_u32_e32 v29, vcc, 0, v25, vcc
	s_waitcnt lgkmcnt(1)
	global_store_dword v[28:29], v21, off offset:3072
.LBB3_128:
	s_or_b64 exec, exec, s[2:3]
	v_or_b32_e32 v1, 0x1400, v0
	v_cmp_gt_u32_e32 vcc, s20, v1
	s_and_saveexec_b64 s[2:3], vcc
	s_cbranch_execz .LBB3_130
; %bb.129:
	v_add_co_u32_e32 v24, vcc, 0x5000, v24
	s_nop 1
	v_addc_co_u32_e32 v25, vcc, 0, v25, vcc
	s_waitcnt lgkmcnt(0)
	global_store_dword v[24:25], v26, off
.LBB3_130:
	s_or_b64 exec, exec, s[2:3]
	s_load_dword s0, s[0:1], 0x40
	s_waitcnt lgkmcnt(0)
	s_bfe_u32 s0, s0, 0x10008
	s_cmp_eq_u32 s0, 0
	s_cbranch_scc1 .LBB3_208
; %bb.131:
	s_add_u32 s0, s20, -1
	s_addc_u32 s1, s21, -1
	s_add_u32 s2, 0, 0x30c26c00
	s_addc_u32 s3, 0, 44
	s_add_i32 s3, s3, 0xc30c2e0
	s_mul_hi_u32 s9, s2, 0xffffffeb
	s_sub_i32 s9, s9, s2
	s_mul_i32 s10, s3, 0xffffffeb
	s_mul_i32 s4, s2, 0xffffffeb
	s_add_i32 s9, s9, s10
	s_mul_hi_u32 s5, s3, s4
	s_mul_i32 s8, s3, s4
	s_mul_i32 s11, s2, s9
	s_mul_hi_u32 s4, s2, s4
	s_mul_hi_u32 s10, s2, s9
	s_add_u32 s4, s4, s11
	s_addc_u32 s10, 0, s10
	s_add_u32 s4, s4, s8
	s_mul_hi_u32 s11, s3, s9
	s_addc_u32 s4, s10, s5
	s_addc_u32 s5, s11, 0
	s_mul_i32 s8, s3, s9
	s_add_u32 s4, s4, s8
	v_mov_b32_e32 v2, s4
	s_addc_u32 s5, 0, s5
	v_add_co_u32_e32 v2, vcc, s2, v2
	s_cmp_lg_u64 vcc, 0
	s_addc_u32 s2, s3, s5
	v_readfirstlane_b32 s5, v2
	s_mul_i32 s4, s0, s2
	s_mul_hi_u32 s8, s0, s5
	s_mul_hi_u32 s3, s0, s2
	s_add_u32 s4, s8, s4
	s_addc_u32 s3, 0, s3
	s_mul_hi_u32 s9, s1, s5
	s_mul_i32 s5, s1, s5
	s_add_u32 s4, s4, s5
	s_mul_hi_u32 s8, s1, s2
	s_addc_u32 s3, s3, s9
	s_addc_u32 s4, s8, 0
	s_mul_i32 s2, s1, s2
	s_add_u32 s2, s3, s2
	s_addc_u32 s3, 0, s4
	s_add_u32 s4, s2, 1
	s_addc_u32 s5, s3, 0
	s_add_u32 s8, s2, 2
	s_mul_i32 s10, s3, 21
	s_mul_hi_u32 s11, s2, 21
	s_addc_u32 s9, s3, 0
	s_add_i32 s11, s11, s10
	s_mul_i32 s10, s2, 21
	v_mov_b32_e32 v2, s10
	v_sub_co_u32_e32 v2, vcc, s0, v2
	s_cmp_lg_u64 vcc, 0
	v_mov_b32_e32 v1, v3
	s_subb_u32 s10, s1, s11
	v_subrev_co_u32_e32 v3, vcc, 21, v2
	s_cmp_lg_u64 vcc, 0
	s_subb_u32 s11, s10, 0
	v_readfirstlane_b32 s12, v3
	s_cmp_gt_u32 s12, 20
	s_cselect_b32 s12, -1, 0
	s_cmp_eq_u32 s11, 0
	s_cselect_b32 s11, s12, -1
	s_cmp_lg_u32 s11, 0
	s_cselect_b32 s4, s8, s4
	v_readfirstlane_b32 s8, v2
	s_cselect_b32 s5, s9, s5
	s_cmp_gt_u32 s8, 20
	s_cselect_b32 s8, -1, 0
	s_cmp_eq_u32 s10, 0
	s_cselect_b32 s8, s8, -1
	s_cmp_lg_u32 s8, 0
	s_cselect_b32 s3, s5, s3
	s_cselect_b32 s2, s4, s2
	v_cmp_eq_u64_e32 vcc, s[2:3], v[0:1]
	s_and_saveexec_b64 s[2:3], vcc
	s_cbranch_execz .LBB3_208
; %bb.132:
	v_mul_hi_u32_u24_e32 v1, 21, v0
	v_mov_b32_e32 v2, s1
	v_sub_co_u32_e32 v0, vcc, s0, v34
	s_nop 1
	v_subb_co_u32_e32 v1, vcc, v2, v1, vcc
	v_cmp_lt_i64_e32 vcc, 10, v[0:1]
	s_and_saveexec_b64 s[0:1], vcc
	s_xor_b64 s[0:1], exec, s[0:1]
	s_cbranch_execz .LBB3_170
; %bb.133:
	v_cmp_lt_i64_e32 vcc, 15, v[0:1]
	s_and_saveexec_b64 s[2:3], vcc
	s_xor_b64 s[2:3], exec, s[2:3]
	s_cbranch_execz .LBB3_151
; %bb.134:
	;; [unrolled: 5-line block ×5, first 2 shown]
	v_mov_b32_e32 v0, 0
	global_store_dword v0, v26, s[6:7]
                                        ; implicit-def: $vgpr20_vgpr21
.LBB3_138:
	s_andn2_saveexec_b64 s[10:11], s[10:11]
	s_cbranch_execz .LBB3_140
; %bb.139:
	v_mov_b32_e32 v0, 0
	global_store_dword v0, v21, s[6:7]
.LBB3_140:
	s_or_b64 exec, exec, s[10:11]
                                        ; implicit-def: $vgpr20_vgpr21
.LBB3_141:
	s_andn2_saveexec_b64 s[8:9], s[8:9]
	s_cbranch_execz .LBB3_143
; %bb.142:
	v_mov_b32_e32 v0, 0
	global_store_dword v0, v20, s[6:7]
.LBB3_143:
	s_or_b64 exec, exec, s[8:9]
                                        ; implicit-def: $vgpr22_vgpr23
                                        ; implicit-def: $vgpr0_vgpr1
.LBB3_144:
	s_andn2_saveexec_b64 s[4:5], s[4:5]
	s_cbranch_execz .LBB3_150
; %bb.145:
	v_cmp_lt_i64_e32 vcc, 16, v[0:1]
	s_and_saveexec_b64 s[8:9], vcc
	s_xor_b64 s[8:9], exec, s[8:9]
	s_cbranch_execz .LBB3_147
; %bb.146:
	v_mov_b32_e32 v0, 0
	global_store_dword v0, v23, s[6:7]
                                        ; implicit-def: $vgpr22_vgpr23
.LBB3_147:
	s_andn2_saveexec_b64 s[8:9], s[8:9]
	s_cbranch_execz .LBB3_149
; %bb.148:
	v_mov_b32_e32 v0, 0
	global_store_dword v0, v22, s[6:7]
.LBB3_149:
	s_or_b64 exec, exec, s[8:9]
.LBB3_150:
	s_or_b64 exec, exec, s[4:5]
                                        ; implicit-def: $vgpr0_vgpr1
                                        ; implicit-def: $vgpr4_vgpr5
                                        ; implicit-def: $vgpr14_vgpr15
                                        ; implicit-def: $vgpr18_vgpr19
.LBB3_151:
	s_andn2_saveexec_b64 s[2:3], s[2:3]
	s_cbranch_execz .LBB3_169
; %bb.152:
	v_cmp_lt_i64_e32 vcc, 12, v[0:1]
	s_and_saveexec_b64 s[4:5], vcc
	s_xor_b64 s[4:5], exec, s[4:5]
	s_cbranch_execz .LBB3_162
; %bb.153:
	v_cmp_lt_i64_e32 vcc, 13, v[0:1]
	s_and_saveexec_b64 s[8:9], vcc
	s_xor_b64 s[8:9], exec, s[8:9]
	;; [unrolled: 5-line block ×3, first 2 shown]
	s_cbranch_execz .LBB3_156
; %bb.155:
	v_mov_b32_e32 v0, 0
	global_store_dword v0, v19, s[6:7]
                                        ; implicit-def: $vgpr18_vgpr19
.LBB3_156:
	s_andn2_saveexec_b64 s[10:11], s[10:11]
	s_cbranch_execz .LBB3_158
; %bb.157:
	v_mov_b32_e32 v0, 0
	global_store_dword v0, v18, s[6:7]
.LBB3_158:
	s_or_b64 exec, exec, s[10:11]
                                        ; implicit-def: $vgpr14_vgpr15
.LBB3_159:
	s_andn2_saveexec_b64 s[8:9], s[8:9]
	s_cbranch_execz .LBB3_161
; %bb.160:
	v_mov_b32_e32 v0, 0
	global_store_dword v0, v15, s[6:7]
.LBB3_161:
	s_or_b64 exec, exec, s[8:9]
                                        ; implicit-def: $vgpr4_vgpr5
                                        ; implicit-def: $vgpr0_vgpr1
                                        ; implicit-def: $vgpr14_vgpr15
.LBB3_162:
	s_andn2_saveexec_b64 s[4:5], s[4:5]
	s_cbranch_execz .LBB3_168
; %bb.163:
	v_cmp_lt_i64_e32 vcc, 11, v[0:1]
	s_and_saveexec_b64 s[8:9], vcc
	s_xor_b64 s[8:9], exec, s[8:9]
	s_cbranch_execz .LBB3_165
; %bb.164:
	v_mov_b32_e32 v0, 0
	global_store_dword v0, v14, s[6:7]
                                        ; implicit-def: $vgpr4_vgpr5
.LBB3_165:
	s_andn2_saveexec_b64 s[8:9], s[8:9]
	s_cbranch_execz .LBB3_167
; %bb.166:
	v_mov_b32_e32 v0, 0
	global_store_dword v0, v5, s[6:7]
.LBB3_167:
	s_or_b64 exec, exec, s[8:9]
.LBB3_168:
	s_or_b64 exec, exec, s[4:5]
.LBB3_169:
	s_or_b64 exec, exec, s[2:3]
                                        ; implicit-def: $vgpr0_vgpr1
                                        ; implicit-def: $vgpr16_vgpr17
                                        ; implicit-def: $vgpr8_vgpr9
                                        ; implicit-def: $vgpr6_vgpr7
                                        ; implicit-def: $vgpr12_vgpr13
                                        ; implicit-def: $vgpr10_vgpr11
                                        ; implicit-def: $vgpr4_vgpr5
.LBB3_170:
	s_andn2_saveexec_b64 s[0:1], s[0:1]
	s_cbranch_execz .LBB3_208
; %bb.171:
	v_cmp_lt_i64_e32 vcc, 5, v[0:1]
	s_and_saveexec_b64 s[0:1], vcc
	s_xor_b64 s[0:1], exec, s[0:1]
	s_cbranch_execz .LBB3_189
; %bb.172:
	v_cmp_lt_i64_e32 vcc, 7, v[0:1]
	s_and_saveexec_b64 s[2:3], vcc
	s_xor_b64 s[2:3], exec, s[2:3]
	;; [unrolled: 5-line block ×4, first 2 shown]
	s_cbranch_execz .LBB3_176
; %bb.175:
	v_mov_b32_e32 v0, 0
	global_store_dword v0, v4, s[6:7]
                                        ; implicit-def: $vgpr12_vgpr13
.LBB3_176:
	s_andn2_saveexec_b64 s[8:9], s[8:9]
	s_cbranch_execz .LBB3_178
; %bb.177:
	v_mov_b32_e32 v0, 0
	global_store_dword v0, v13, s[6:7]
.LBB3_178:
	s_or_b64 exec, exec, s[8:9]
                                        ; implicit-def: $vgpr12_vgpr13
.LBB3_179:
	s_andn2_saveexec_b64 s[4:5], s[4:5]
	s_cbranch_execz .LBB3_181
; %bb.180:
	v_mov_b32_e32 v0, 0
	global_store_dword v0, v12, s[6:7]
.LBB3_181:
	s_or_b64 exec, exec, s[4:5]
                                        ; implicit-def: $vgpr16_vgpr17
                                        ; implicit-def: $vgpr0_vgpr1
.LBB3_182:
	s_andn2_saveexec_b64 s[2:3], s[2:3]
	s_cbranch_execz .LBB3_188
; %bb.183:
	v_cmp_lt_i64_e32 vcc, 6, v[0:1]
	s_and_saveexec_b64 s[4:5], vcc
	s_xor_b64 s[4:5], exec, s[4:5]
	s_cbranch_execz .LBB3_185
; %bb.184:
	v_mov_b32_e32 v0, 0
	global_store_dword v0, v17, s[6:7]
                                        ; implicit-def: $vgpr16_vgpr17
.LBB3_185:
	s_andn2_saveexec_b64 s[4:5], s[4:5]
	s_cbranch_execz .LBB3_187
; %bb.186:
	v_mov_b32_e32 v0, 0
	global_store_dword v0, v16, s[6:7]
.LBB3_187:
	s_or_b64 exec, exec, s[4:5]
.LBB3_188:
	s_or_b64 exec, exec, s[2:3]
                                        ; implicit-def: $vgpr0_vgpr1
                                        ; implicit-def: $vgpr8_vgpr9
                                        ; implicit-def: $vgpr6_vgpr7
                                        ; implicit-def: $vgpr10_vgpr11
.LBB3_189:
	s_andn2_saveexec_b64 s[0:1], s[0:1]
	s_cbranch_execz .LBB3_208
; %bb.190:
	v_cmp_lt_i64_e32 vcc, 2, v[0:1]
	s_and_saveexec_b64 s[0:1], vcc
	s_xor_b64 s[0:1], exec, s[0:1]
	s_cbranch_execz .LBB3_200
; %bb.191:
	v_cmp_lt_i64_e32 vcc, 3, v[0:1]
	s_and_saveexec_b64 s[2:3], vcc
	s_xor_b64 s[2:3], exec, s[2:3]
	;; [unrolled: 5-line block ×3, first 2 shown]
	s_cbranch_execz .LBB3_194
; %bb.193:
	v_mov_b32_e32 v0, 0
	global_store_dword v0, v11, s[6:7]
                                        ; implicit-def: $vgpr10_vgpr11
.LBB3_194:
	s_andn2_saveexec_b64 s[4:5], s[4:5]
	s_cbranch_execz .LBB3_196
; %bb.195:
	v_mov_b32_e32 v0, 0
	global_store_dword v0, v10, s[6:7]
.LBB3_196:
	s_or_b64 exec, exec, s[4:5]
                                        ; implicit-def: $vgpr8_vgpr9
.LBB3_197:
	s_andn2_saveexec_b64 s[2:3], s[2:3]
	s_cbranch_execz .LBB3_199
; %bb.198:
	v_mov_b32_e32 v0, 0
	global_store_dword v0, v9, s[6:7]
.LBB3_199:
	s_or_b64 exec, exec, s[2:3]
                                        ; implicit-def: $vgpr0_vgpr1
                                        ; implicit-def: $vgpr8_vgpr9
                                        ; implicit-def: $vgpr6_vgpr7
.LBB3_200:
	s_andn2_saveexec_b64 s[0:1], s[0:1]
	s_cbranch_execz .LBB3_208
; %bb.201:
	v_cmp_lt_i64_e32 vcc, 1, v[0:1]
	s_and_saveexec_b64 s[0:1], vcc
	s_xor_b64 s[0:1], exec, s[0:1]
	s_cbranch_execz .LBB3_203
; %bb.202:
	v_mov_b32_e32 v0, 0
	global_store_dword v0, v8, s[6:7]
                                        ; implicit-def: $vgpr6_vgpr7
                                        ; implicit-def: $vgpr0_vgpr1
.LBB3_203:
	s_andn2_saveexec_b64 s[0:1], s[0:1]
	s_cbranch_execz .LBB3_208
; %bb.204:
	v_cmp_ne_u64_e32 vcc, 1, v[0:1]
	s_and_saveexec_b64 s[0:1], vcc
	s_xor_b64 s[0:1], exec, s[0:1]
	s_cbranch_execz .LBB3_206
; %bb.205:
	v_mov_b32_e32 v0, 0
	global_store_dword v0, v6, s[6:7]
                                        ; implicit-def: $vgpr6_vgpr7
.LBB3_206:
	s_andn2_saveexec_b64 s[0:1], s[0:1]
	s_cbranch_execz .LBB3_208
; %bb.207:
	v_mov_b32_e32 v0, 0
	global_store_dword v0, v7, s[6:7]
.LBB3_208:
	s_endpgm
	.section	.rodata,"a",@progbits
	.p2align	6, 0x0
	.amdhsa_kernel _ZN7rocprim17ROCPRIM_304000_NS6detail20lookback_scan_kernelILNS1_25lookback_scan_determinismE0ELb0ENS1_19wrapped_scan_configINS0_14default_configEiEEPKiPiSt4plusIvEiiNS1_19lookback_scan_stateIiLb0ELb1EEEEEvT2_T3_mT5_T4_T7_jPT6_SK_bb
		.amdhsa_group_segment_fixed_size 21504
		.amdhsa_private_segment_fixed_size 0
		.amdhsa_kernarg_size 68
		.amdhsa_user_sgpr_count 2
		.amdhsa_user_sgpr_dispatch_ptr 0
		.amdhsa_user_sgpr_queue_ptr 0
		.amdhsa_user_sgpr_kernarg_segment_ptr 1
		.amdhsa_user_sgpr_dispatch_id 0
		.amdhsa_user_sgpr_kernarg_preload_length 0
		.amdhsa_user_sgpr_kernarg_preload_offset 0
		.amdhsa_user_sgpr_private_segment_size 0
		.amdhsa_uses_dynamic_stack 0
		.amdhsa_enable_private_segment 0
		.amdhsa_system_sgpr_workgroup_id_x 1
		.amdhsa_system_sgpr_workgroup_id_y 0
		.amdhsa_system_sgpr_workgroup_id_z 0
		.amdhsa_system_sgpr_workgroup_info 0
		.amdhsa_system_vgpr_workitem_id 0
		.amdhsa_next_free_vgpr 53
		.amdhsa_next_free_sgpr 24
		.amdhsa_accum_offset 56
		.amdhsa_reserve_vcc 1
		.amdhsa_float_round_mode_32 0
		.amdhsa_float_round_mode_16_64 0
		.amdhsa_float_denorm_mode_32 3
		.amdhsa_float_denorm_mode_16_64 3
		.amdhsa_dx10_clamp 1
		.amdhsa_ieee_mode 1
		.amdhsa_fp16_overflow 0
		.amdhsa_tg_split 0
		.amdhsa_exception_fp_ieee_invalid_op 0
		.amdhsa_exception_fp_denorm_src 0
		.amdhsa_exception_fp_ieee_div_zero 0
		.amdhsa_exception_fp_ieee_overflow 0
		.amdhsa_exception_fp_ieee_underflow 0
		.amdhsa_exception_fp_ieee_inexact 0
		.amdhsa_exception_int_div_zero 0
	.end_amdhsa_kernel
	.section	.text._ZN7rocprim17ROCPRIM_304000_NS6detail20lookback_scan_kernelILNS1_25lookback_scan_determinismE0ELb0ENS1_19wrapped_scan_configINS0_14default_configEiEEPKiPiSt4plusIvEiiNS1_19lookback_scan_stateIiLb0ELb1EEEEEvT2_T3_mT5_T4_T7_jPT6_SK_bb,"axG",@progbits,_ZN7rocprim17ROCPRIM_304000_NS6detail20lookback_scan_kernelILNS1_25lookback_scan_determinismE0ELb0ENS1_19wrapped_scan_configINS0_14default_configEiEEPKiPiSt4plusIvEiiNS1_19lookback_scan_stateIiLb0ELb1EEEEEvT2_T3_mT5_T4_T7_jPT6_SK_bb,comdat
.Lfunc_end3:
	.size	_ZN7rocprim17ROCPRIM_304000_NS6detail20lookback_scan_kernelILNS1_25lookback_scan_determinismE0ELb0ENS1_19wrapped_scan_configINS0_14default_configEiEEPKiPiSt4plusIvEiiNS1_19lookback_scan_stateIiLb0ELb1EEEEEvT2_T3_mT5_T4_T7_jPT6_SK_bb, .Lfunc_end3-_ZN7rocprim17ROCPRIM_304000_NS6detail20lookback_scan_kernelILNS1_25lookback_scan_determinismE0ELb0ENS1_19wrapped_scan_configINS0_14default_configEiEEPKiPiSt4plusIvEiiNS1_19lookback_scan_stateIiLb0ELb1EEEEEvT2_T3_mT5_T4_T7_jPT6_SK_bb
                                        ; -- End function
	.section	.AMDGPU.csdata,"",@progbits
; Kernel info:
; codeLenInByte = 7016
; NumSgprs: 30
; NumVgprs: 53
; NumAgprs: 0
; TotalNumVgprs: 53
; ScratchSize: 0
; MemoryBound: 0
; FloatMode: 240
; IeeeMode: 1
; LDSByteSize: 21504 bytes/workgroup (compile time only)
; SGPRBlocks: 3
; VGPRBlocks: 6
; NumSGPRsForWavesPerEU: 30
; NumVGPRsForWavesPerEU: 53
; AccumOffset: 56
; Occupancy: 3
; WaveLimiterHint : 1
; COMPUTE_PGM_RSRC2:SCRATCH_EN: 0
; COMPUTE_PGM_RSRC2:USER_SGPR: 2
; COMPUTE_PGM_RSRC2:TRAP_HANDLER: 0
; COMPUTE_PGM_RSRC2:TGID_X_EN: 1
; COMPUTE_PGM_RSRC2:TGID_Y_EN: 0
; COMPUTE_PGM_RSRC2:TGID_Z_EN: 0
; COMPUTE_PGM_RSRC2:TIDIG_COMP_CNT: 0
; COMPUTE_PGM_RSRC3_GFX90A:ACCUM_OFFSET: 13
; COMPUTE_PGM_RSRC3_GFX90A:TG_SPLIT: 0
	.section	.text._ZN7rocprim17ROCPRIM_304000_NS6detail16transform_kernelINS1_24wrapped_transform_configINS0_14default_configEiEEiPiS6_NS0_8identityIiEEEEvT1_mT2_T3_,"axG",@progbits,_ZN7rocprim17ROCPRIM_304000_NS6detail16transform_kernelINS1_24wrapped_transform_configINS0_14default_configEiEEiPiS6_NS0_8identityIiEEEEvT1_mT2_T3_,comdat
	.protected	_ZN7rocprim17ROCPRIM_304000_NS6detail16transform_kernelINS1_24wrapped_transform_configINS0_14default_configEiEEiPiS6_NS0_8identityIiEEEEvT1_mT2_T3_ ; -- Begin function _ZN7rocprim17ROCPRIM_304000_NS6detail16transform_kernelINS1_24wrapped_transform_configINS0_14default_configEiEEiPiS6_NS0_8identityIiEEEEvT1_mT2_T3_
	.globl	_ZN7rocprim17ROCPRIM_304000_NS6detail16transform_kernelINS1_24wrapped_transform_configINS0_14default_configEiEEiPiS6_NS0_8identityIiEEEEvT1_mT2_T3_
	.p2align	8
	.type	_ZN7rocprim17ROCPRIM_304000_NS6detail16transform_kernelINS1_24wrapped_transform_configINS0_14default_configEiEEiPiS6_NS0_8identityIiEEEEvT1_mT2_T3_,@function
_ZN7rocprim17ROCPRIM_304000_NS6detail16transform_kernelINS1_24wrapped_transform_configINS0_14default_configEiEEiPiS6_NS0_8identityIiEEEEvT1_mT2_T3_: ; @_ZN7rocprim17ROCPRIM_304000_NS6detail16transform_kernelINS1_24wrapped_transform_configINS0_14default_configEiEEiPiS6_NS0_8identityIiEEEEvT1_mT2_T3_
; %bb.0:
	s_load_dword s3, s[0:1], 0x20
	s_load_dwordx4 s[4:7], s[0:1], 0x0
	s_load_dwordx2 s[8:9], s[0:1], 0x10
	s_lshl_b32 s0, s2, 10
	s_mov_b32 s1, 0
	s_waitcnt lgkmcnt(0)
	s_add_i32 s3, s3, -1
	s_lshl_b64 s[10:11], s[0:1], 2
	s_add_u32 s4, s4, s10
	s_addc_u32 s5, s5, s11
	v_mov_b32_e32 v7, 0
	v_lshlrev_b32_e32 v6, 2, v0
	s_cmp_lg_u32 s2, s3
	v_lshl_add_u64 v[8:9], s[4:5], 0, v[6:7]
	s_cbranch_scc0 .LBB4_2
; %bb.1:
	global_load_dword v2, v[8:9], off
	global_load_dword v3, v[8:9], off offset:1024
	global_load_dword v4, v[8:9], off offset:2048
	;; [unrolled: 1-line block ×3, first 2 shown]
	s_add_u32 s4, s8, s10
	s_addc_u32 s5, s9, s11
	s_mov_b64 s[12:13], -1
	s_waitcnt vmcnt(3)
	global_store_dword v6, v2, s[4:5]
	s_waitcnt vmcnt(3)
	global_store_dword v6, v3, s[4:5] offset:1024
	s_waitcnt vmcnt(3)
	global_store_dword v6, v4, s[4:5] offset:2048
	s_cbranch_execz .LBB4_3
	s_branch .LBB4_17
.LBB4_2:
	s_mov_b64 s[12:13], 0
                                        ; implicit-def: $vgpr1
.LBB4_3:
	s_sub_i32 s6, s6, s0
	v_cmp_gt_u32_e32 vcc, s6, v0
                                        ; implicit-def: $vgpr2_vgpr3_vgpr4_vgpr5
	s_and_saveexec_b64 s[0:1], vcc
	s_cbranch_execz .LBB4_5
; %bb.4:
	global_load_dword v2, v[8:9], off
.LBB4_5:
	s_or_b64 exec, exec, s[0:1]
	s_waitcnt vmcnt(3)
	v_or_b32_e32 v1, 0x100, v0
	v_cmp_gt_u32_e64 s[0:1], s6, v1
	s_and_saveexec_b64 s[2:3], s[0:1]
	s_cbranch_execz .LBB4_7
; %bb.6:
	global_load_dword v3, v[8:9], off offset:1024
.LBB4_7:
	s_or_b64 exec, exec, s[2:3]
	v_or_b32_e32 v1, 0x200, v0
	v_cmp_gt_u32_e64 s[2:3], s6, v1
	s_and_saveexec_b64 s[4:5], s[2:3]
	s_cbranch_execz .LBB4_9
; %bb.8:
	global_load_dword v4, v[8:9], off offset:2048
.LBB4_9:
	s_or_b64 exec, exec, s[4:5]
	;; [unrolled: 8-line block ×3, first 2 shown]
	s_add_u32 s6, s8, s10
	s_addc_u32 s7, s9, s11
	v_mov_b32_e32 v7, 0
	v_lshl_add_u64 v[0:1], s[6:7], 0, v[6:7]
	s_and_saveexec_b64 s[6:7], vcc
	s_cbranch_execnz .LBB4_20
; %bb.12:
	s_or_b64 exec, exec, s[6:7]
	s_and_saveexec_b64 s[6:7], s[0:1]
	s_cbranch_execnz .LBB4_21
.LBB4_13:
	s_or_b64 exec, exec, s[6:7]
	s_and_saveexec_b64 s[0:1], s[2:3]
	s_cbranch_execnz .LBB4_22
.LBB4_14:
	s_or_b64 exec, exec, s[0:1]
                                        ; implicit-def: $vgpr1
	s_and_saveexec_b64 s[0:1], s[4:5]
	s_cbranch_execz .LBB4_16
.LBB4_15:
	s_waitcnt vmcnt(0)
	v_cndmask_b32_e64 v1, v5, v5, s[4:5]
	s_or_b64 s[12:13], s[12:13], exec
.LBB4_16:
	s_or_b64 exec, exec, s[0:1]
.LBB4_17:
	s_and_saveexec_b64 s[0:1], s[12:13]
	s_cbranch_execnz .LBB4_19
; %bb.18:
	s_endpgm
.LBB4_19:
	s_add_u32 s0, s8, s10
	s_addc_u32 s1, s9, s11
	s_waitcnt vmcnt(3)
	global_store_dword v6, v1, s[0:1] offset:3072
	s_endpgm
.LBB4_20:
	s_waitcnt vmcnt(0)
	global_store_dword v[0:1], v2, off
	s_or_b64 exec, exec, s[6:7]
	s_and_saveexec_b64 s[6:7], s[0:1]
	s_cbranch_execz .LBB4_13
.LBB4_21:
	s_waitcnt vmcnt(0)
	global_store_dword v[0:1], v3, off offset:1024
	s_or_b64 exec, exec, s[6:7]
	s_and_saveexec_b64 s[0:1], s[2:3]
	s_cbranch_execz .LBB4_14
.LBB4_22:
	s_waitcnt vmcnt(0)
	v_cndmask_b32_e64 v2, v4, v4, s[2:3]
	global_store_dword v[0:1], v2, off offset:2048
	s_or_b64 exec, exec, s[0:1]
                                        ; implicit-def: $vgpr1
	s_and_saveexec_b64 s[0:1], s[4:5]
	s_cbranch_execnz .LBB4_15
	s_branch .LBB4_16
	.section	.rodata,"a",@progbits
	.p2align	6, 0x0
	.amdhsa_kernel _ZN7rocprim17ROCPRIM_304000_NS6detail16transform_kernelINS1_24wrapped_transform_configINS0_14default_configEiEEiPiS6_NS0_8identityIiEEEEvT1_mT2_T3_
		.amdhsa_group_segment_fixed_size 0
		.amdhsa_private_segment_fixed_size 0
		.amdhsa_kernarg_size 288
		.amdhsa_user_sgpr_count 2
		.amdhsa_user_sgpr_dispatch_ptr 0
		.amdhsa_user_sgpr_queue_ptr 0
		.amdhsa_user_sgpr_kernarg_segment_ptr 1
		.amdhsa_user_sgpr_dispatch_id 0
		.amdhsa_user_sgpr_kernarg_preload_length 0
		.amdhsa_user_sgpr_kernarg_preload_offset 0
		.amdhsa_user_sgpr_private_segment_size 0
		.amdhsa_uses_dynamic_stack 0
		.amdhsa_enable_private_segment 0
		.amdhsa_system_sgpr_workgroup_id_x 1
		.amdhsa_system_sgpr_workgroup_id_y 0
		.amdhsa_system_sgpr_workgroup_id_z 0
		.amdhsa_system_sgpr_workgroup_info 0
		.amdhsa_system_vgpr_workitem_id 0
		.amdhsa_next_free_vgpr 10
		.amdhsa_next_free_sgpr 14
		.amdhsa_accum_offset 12
		.amdhsa_reserve_vcc 1
		.amdhsa_float_round_mode_32 0
		.amdhsa_float_round_mode_16_64 0
		.amdhsa_float_denorm_mode_32 3
		.amdhsa_float_denorm_mode_16_64 3
		.amdhsa_dx10_clamp 1
		.amdhsa_ieee_mode 1
		.amdhsa_fp16_overflow 0
		.amdhsa_tg_split 0
		.amdhsa_exception_fp_ieee_invalid_op 0
		.amdhsa_exception_fp_denorm_src 0
		.amdhsa_exception_fp_ieee_div_zero 0
		.amdhsa_exception_fp_ieee_overflow 0
		.amdhsa_exception_fp_ieee_underflow 0
		.amdhsa_exception_fp_ieee_inexact 0
		.amdhsa_exception_int_div_zero 0
	.end_amdhsa_kernel
	.section	.text._ZN7rocprim17ROCPRIM_304000_NS6detail16transform_kernelINS1_24wrapped_transform_configINS0_14default_configEiEEiPiS6_NS0_8identityIiEEEEvT1_mT2_T3_,"axG",@progbits,_ZN7rocprim17ROCPRIM_304000_NS6detail16transform_kernelINS1_24wrapped_transform_configINS0_14default_configEiEEiPiS6_NS0_8identityIiEEEEvT1_mT2_T3_,comdat
.Lfunc_end4:
	.size	_ZN7rocprim17ROCPRIM_304000_NS6detail16transform_kernelINS1_24wrapped_transform_configINS0_14default_configEiEEiPiS6_NS0_8identityIiEEEEvT1_mT2_T3_, .Lfunc_end4-_ZN7rocprim17ROCPRIM_304000_NS6detail16transform_kernelINS1_24wrapped_transform_configINS0_14default_configEiEEiPiS6_NS0_8identityIiEEEEvT1_mT2_T3_
                                        ; -- End function
	.section	.AMDGPU.csdata,"",@progbits
; Kernel info:
; codeLenInByte = 512
; NumSgprs: 20
; NumVgprs: 10
; NumAgprs: 0
; TotalNumVgprs: 10
; ScratchSize: 0
; MemoryBound: 0
; FloatMode: 240
; IeeeMode: 1
; LDSByteSize: 0 bytes/workgroup (compile time only)
; SGPRBlocks: 2
; VGPRBlocks: 1
; NumSGPRsForWavesPerEU: 20
; NumVGPRsForWavesPerEU: 10
; AccumOffset: 12
; Occupancy: 8
; WaveLimiterHint : 1
; COMPUTE_PGM_RSRC2:SCRATCH_EN: 0
; COMPUTE_PGM_RSRC2:USER_SGPR: 2
; COMPUTE_PGM_RSRC2:TRAP_HANDLER: 0
; COMPUTE_PGM_RSRC2:TGID_X_EN: 1
; COMPUTE_PGM_RSRC2:TGID_Y_EN: 0
; COMPUTE_PGM_RSRC2:TGID_Z_EN: 0
; COMPUTE_PGM_RSRC2:TIDIG_COMP_CNT: 0
; COMPUTE_PGM_RSRC3_GFX90A:ACCUM_OFFSET: 2
; COMPUTE_PGM_RSRC3_GFX90A:TG_SPLIT: 0
	.section	.text._ZN7rocprim17ROCPRIM_304000_NS6detail18single_scan_kernelILb0ENS1_19wrapped_scan_configINS0_14default_configEiEEPKiPiSt4plusIvEiiEEvT1_mT4_T2_T3_,"axG",@progbits,_ZN7rocprim17ROCPRIM_304000_NS6detail18single_scan_kernelILb0ENS1_19wrapped_scan_configINS0_14default_configEiEEPKiPiSt4plusIvEiiEEvT1_mT4_T2_T3_,comdat
	.protected	_ZN7rocprim17ROCPRIM_304000_NS6detail18single_scan_kernelILb0ENS1_19wrapped_scan_configINS0_14default_configEiEEPKiPiSt4plusIvEiiEEvT1_mT4_T2_T3_ ; -- Begin function _ZN7rocprim17ROCPRIM_304000_NS6detail18single_scan_kernelILb0ENS1_19wrapped_scan_configINS0_14default_configEiEEPKiPiSt4plusIvEiiEEvT1_mT4_T2_T3_
	.globl	_ZN7rocprim17ROCPRIM_304000_NS6detail18single_scan_kernelILb0ENS1_19wrapped_scan_configINS0_14default_configEiEEPKiPiSt4plusIvEiiEEvT1_mT4_T2_T3_
	.p2align	8
	.type	_ZN7rocprim17ROCPRIM_304000_NS6detail18single_scan_kernelILb0ENS1_19wrapped_scan_configINS0_14default_configEiEEPKiPiSt4plusIvEiiEEvT1_mT4_T2_T3_,@function
_ZN7rocprim17ROCPRIM_304000_NS6detail18single_scan_kernelILb0ENS1_19wrapped_scan_configINS0_14default_configEiEEPKiPiSt4plusIvEiiEEvT1_mT4_T2_T3_: ; @_ZN7rocprim17ROCPRIM_304000_NS6detail18single_scan_kernelILb0ENS1_19wrapped_scan_configINS0_14default_configEiEEPKiPiSt4plusIvEiiEEvT1_mT4_T2_T3_
; %bb.0:
	s_load_dwordx4 s[44:47], s[0:1], 0x0
	v_mov_b32_e32 v3, 0
	v_lshlrev_b32_e32 v2, 2, v0
	s_waitcnt lgkmcnt(0)
	s_load_dword s33, s[44:45], 0x0
	v_lshl_add_u64 v[4:5], s[44:45], 0, v[2:3]
	v_cmp_gt_u32_e64 s[16:17], s46, v0
	s_waitcnt lgkmcnt(0)
	v_mov_b32_e32 v1, s33
	s_and_saveexec_b64 s[2:3], s[16:17]
	s_cbranch_execz .LBB5_2
; %bb.1:
	global_load_dword v1, v[4:5], off
.LBB5_2:
	s_or_b64 exec, exec, s[2:3]
	v_or_b32_e32 v3, 0x100, v0
	v_cmp_gt_u32_e64 s[2:3], s46, v3
	v_mov_b32_e32 v3, s33
	s_and_saveexec_b64 s[4:5], s[2:3]
	s_cbranch_execz .LBB5_4
; %bb.3:
	global_load_dword v3, v[4:5], off offset:1024
.LBB5_4:
	s_or_b64 exec, exec, s[4:5]
	v_or_b32_e32 v6, 0x200, v0
	v_cmp_gt_u32_e64 s[4:5], s46, v6
	v_mov_b32_e32 v6, s33
	s_and_saveexec_b64 s[6:7], s[4:5]
	s_cbranch_execz .LBB5_6
; %bb.5:
	global_load_dword v6, v[4:5], off offset:2048
.LBB5_6:
	;; [unrolled: 9-line block ×3, first 2 shown]
	s_or_b64 exec, exec, s[8:9]
	v_or_b32_e32 v8, 0x400, v0
	v_cmp_gt_u32_e64 s[8:9], s46, v8
	v_mov_b32_e32 v8, s33
	s_and_saveexec_b64 s[10:11], s[8:9]
	s_cbranch_execz .LBB5_10
; %bb.9:
	v_add_co_u32_e32 v8, vcc, 0x1000, v4
	s_nop 1
	v_addc_co_u32_e32 v9, vcc, 0, v5, vcc
	global_load_dword v8, v[8:9], off
.LBB5_10:
	s_or_b64 exec, exec, s[10:11]
	v_or_b32_e32 v9, 0x500, v0
	v_cmp_gt_u32_e64 s[10:11], s46, v9
	v_mov_b32_e32 v9, s33
	s_and_saveexec_b64 s[12:13], s[10:11]
	s_cbranch_execz .LBB5_12
; %bb.11:
	v_add_co_u32_e32 v10, vcc, 0x1000, v4
	s_nop 1
	v_addc_co_u32_e32 v11, vcc, 0, v5, vcc
	global_load_dword v9, v[10:11], off offset:1024
.LBB5_12:
	s_or_b64 exec, exec, s[12:13]
	v_or_b32_e32 v10, 0x600, v0
	v_cmp_gt_u32_e64 s[12:13], s46, v10
	v_mov_b32_e32 v10, s33
	s_and_saveexec_b64 s[14:15], s[12:13]
	s_cbranch_execz .LBB5_14
; %bb.13:
	v_add_co_u32_e32 v10, vcc, 0x1000, v4
	s_nop 1
	v_addc_co_u32_e32 v11, vcc, 0, v5, vcc
	global_load_dword v10, v[10:11], off offset:2048
.LBB5_14:
	s_or_b64 exec, exec, s[14:15]
	v_or_b32_e32 v11, 0x700, v0
	v_cmp_gt_u32_e64 s[14:15], s46, v11
	v_mov_b32_e32 v11, s33
	s_and_saveexec_b64 s[18:19], s[14:15]
	s_cbranch_execz .LBB5_16
; %bb.15:
	v_add_co_u32_e32 v12, vcc, 0x1000, v4
	s_nop 1
	v_addc_co_u32_e32 v13, vcc, 0, v5, vcc
	global_load_dword v11, v[12:13], off offset:3072
.LBB5_16:
	s_or_b64 exec, exec, s[18:19]
	v_or_b32_e32 v12, 0x800, v0
	v_cmp_gt_u32_e64 s[18:19], s46, v12
	v_mov_b32_e32 v12, s33
	s_and_saveexec_b64 s[20:21], s[18:19]
	s_cbranch_execz .LBB5_18
; %bb.17:
	v_add_co_u32_e32 v12, vcc, 0x2000, v4
	s_nop 1
	v_addc_co_u32_e32 v13, vcc, 0, v5, vcc
	global_load_dword v12, v[12:13], off
.LBB5_18:
	s_or_b64 exec, exec, s[20:21]
	v_or_b32_e32 v13, 0x900, v0
	v_cmp_gt_u32_e64 s[20:21], s46, v13
	v_mov_b32_e32 v13, s33
	s_and_saveexec_b64 s[22:23], s[20:21]
	s_cbranch_execz .LBB5_20
; %bb.19:
	v_add_co_u32_e32 v14, vcc, 0x2000, v4
	s_nop 1
	v_addc_co_u32_e32 v15, vcc, 0, v5, vcc
	global_load_dword v13, v[14:15], off offset:1024
.LBB5_20:
	s_or_b64 exec, exec, s[22:23]
	v_or_b32_e32 v14, 0xa00, v0
	v_cmp_gt_u32_e64 s[22:23], s46, v14
	v_mov_b32_e32 v14, s33
	s_and_saveexec_b64 s[24:25], s[22:23]
	s_cbranch_execz .LBB5_22
; %bb.21:
	v_add_co_u32_e32 v14, vcc, 0x2000, v4
	s_nop 1
	v_addc_co_u32_e32 v15, vcc, 0, v5, vcc
	global_load_dword v14, v[14:15], off offset:2048
.LBB5_22:
	s_or_b64 exec, exec, s[24:25]
	v_or_b32_e32 v15, 0xb00, v0
	v_cmp_gt_u32_e64 s[24:25], s46, v15
	v_mov_b32_e32 v15, s33
	s_and_saveexec_b64 s[26:27], s[24:25]
	s_cbranch_execz .LBB5_24
; %bb.23:
	v_add_co_u32_e32 v16, vcc, 0x2000, v4
	s_nop 1
	v_addc_co_u32_e32 v17, vcc, 0, v5, vcc
	global_load_dword v15, v[16:17], off offset:3072
.LBB5_24:
	;; [unrolled: 48-line block ×4, first 2 shown]
	s_or_b64 exec, exec, s[44:45]
	v_or_b32_e32 v24, 0x1400, v0
	v_cmp_gt_u32_e64 s[44:45], s46, v24
	v_mov_b32_e32 v24, s33
	s_and_saveexec_b64 s[46:47], s[44:45]
	s_cbranch_execz .LBB5_42
; %bb.41:
	v_add_co_u32_e32 v4, vcc, 0x5000, v4
	s_nop 1
	v_addc_co_u32_e32 v5, vcc, 0, v5, vcc
	global_load_dword v24, v[4:5], off
.LBB5_42:
	s_or_b64 exec, exec, s[46:47]
	s_movk_i32 s33, 0x50
	s_waitcnt vmcnt(0)
	ds_write2st64_b32 v2, v1, v3 offset1:4
	ds_write2st64_b32 v2, v6, v7 offset0:8 offset1:12
	ds_write2st64_b32 v2, v8, v9 offset0:16 offset1:20
	;; [unrolled: 1-line block ×9, first 2 shown]
	ds_write_b32 v2, v24 offset:20480
	v_mad_u32_u24 v1, v0, s33, v2
	s_waitcnt lgkmcnt(0)
	s_barrier
	ds_read2_b32 v[22:23], v1 offset1:1
	ds_read2_b32 v[20:21], v1 offset0:2 offset1:3
	ds_read2_b32 v[18:19], v1 offset0:4 offset1:5
	;; [unrolled: 1-line block ×9, first 2 shown]
	ds_read_b32 v1, v1 offset:80
	s_waitcnt lgkmcnt(9)
	v_add3_u32 v3, v23, v22, v20
	s_waitcnt lgkmcnt(8)
	v_add3_u32 v3, v3, v21, v18
	s_waitcnt lgkmcnt(7)
	v_add3_u32 v3, v3, v19, v16
	s_waitcnt lgkmcnt(6)
	v_add3_u32 v3, v3, v17, v14
	s_waitcnt lgkmcnt(5)
	v_add3_u32 v3, v3, v15, v12
	s_waitcnt lgkmcnt(4)
	v_add3_u32 v3, v3, v13, v10
	s_waitcnt lgkmcnt(3)
	v_add3_u32 v3, v3, v11, v8
	s_waitcnt lgkmcnt(2)
	v_add3_u32 v3, v3, v9, v6
	s_waitcnt lgkmcnt(1)
	v_add3_u32 v3, v3, v7, v4
	s_waitcnt lgkmcnt(0)
	v_add3_u32 v24, v3, v5, v1
	v_mbcnt_lo_u32_b32 v3, -1, 0
	v_mbcnt_hi_u32_b32 v3, -1, v3
	v_and_b32_e32 v25, 15, v3
	v_mov_b32_dpp v26, v24 row_shr:1 row_mask:0xf bank_mask:0xf
	v_cmp_ne_u32_e32 vcc, 0, v25
	s_barrier
	s_nop 0
	v_cndmask_b32_e32 v26, 0, v26, vcc
	v_add_u32_e32 v24, v26, v24
	v_cmp_lt_u32_e32 vcc, 1, v25
	s_nop 0
	v_mov_b32_dpp v26, v24 row_shr:2 row_mask:0xf bank_mask:0xf
	v_cndmask_b32_e32 v26, 0, v26, vcc
	v_add_u32_e32 v24, v24, v26
	v_cmp_lt_u32_e32 vcc, 3, v25
	s_nop 0
	v_mov_b32_dpp v26, v24 row_shr:4 row_mask:0xf bank_mask:0xf
	;; [unrolled: 5-line block ×3, first 2 shown]
	v_cndmask_b32_e32 v25, 0, v26, vcc
	v_add_u32_e32 v24, v24, v25
	v_bfe_i32 v26, v3, 4, 1
	v_cmp_lt_u32_e32 vcc, 31, v3
	v_mov_b32_dpp v25, v24 row_bcast:15 row_mask:0xf bank_mask:0xf
	v_and_b32_e32 v25, v26, v25
	v_add_u32_e32 v24, v24, v25
	v_lshrrev_b32_e32 v26, 6, v0
	s_nop 0
	v_mov_b32_dpp v25, v24 row_bcast:31 row_mask:0xf bank_mask:0xf
	v_cndmask_b32_e32 v25, 0, v25, vcc
	v_add_u32_e32 v24, v24, v25
	v_or_b32_e32 v25, 63, v0
	v_cmp_eq_u32_e32 vcc, v25, v0
	s_and_saveexec_b64 s[46:47], vcc
	s_cbranch_execz .LBB5_44
; %bb.43:
	v_lshlrev_b32_e32 v25, 2, v26
	ds_write_b32 v25, v24
.LBB5_44:
	s_or_b64 exec, exec, s[46:47]
	v_cmp_gt_u32_e32 vcc, 4, v0
	s_waitcnt lgkmcnt(0)
	s_barrier
	s_and_saveexec_b64 s[46:47], vcc
	s_cbranch_execz .LBB5_46
; %bb.45:
	ds_read_b32 v25, v2
	v_and_b32_e32 v27, 3, v3
	v_cmp_ne_u32_e32 vcc, 0, v27
	s_waitcnt lgkmcnt(0)
	v_mov_b32_dpp v28, v25 row_shr:1 row_mask:0xf bank_mask:0xf
	v_cndmask_b32_e32 v28, 0, v28, vcc
	v_add_u32_e32 v25, v28, v25
	v_cmp_lt_u32_e32 vcc, 1, v27
	s_nop 0
	v_mov_b32_dpp v28, v25 row_shr:2 row_mask:0xf bank_mask:0xf
	v_cndmask_b32_e32 v27, 0, v28, vcc
	v_add_u32_e32 v25, v25, v27
	ds_write_b32 v2, v25
.LBB5_46:
	s_or_b64 exec, exec, s[46:47]
	v_mul_u32_u24_e32 v25, 0x50, v0
	v_cmp_lt_u32_e32 vcc, 63, v0
	s_waitcnt lgkmcnt(0)
	s_barrier
	s_waitcnt lgkmcnt(0)
                                        ; implicit-def: $vgpr27
	s_and_saveexec_b64 s[46:47], vcc
	s_cbranch_execz .LBB5_48
; %bb.47:
	v_lshl_add_u32 v26, v26, 2, -4
	ds_read_b32 v27, v26
	s_waitcnt lgkmcnt(0)
	v_add_u32_e32 v24, v27, v24
.LBB5_48:
	s_or_b64 exec, exec, s[46:47]
	v_add_u32_e32 v26, -1, v3
	v_and_b32_e32 v28, 64, v3
	v_cmp_lt_i32_e32 vcc, v26, v28
	s_barrier
	s_nop 0
	v_cndmask_b32_e32 v26, v26, v3, vcc
	v_lshlrev_b32_e32 v26, 2, v26
	ds_bpermute_b32 v24, v26, v24
	v_cmp_eq_u32_e32 vcc, 0, v3
	s_waitcnt lgkmcnt(0)
	s_load_dwordx2 s[0:1], s[0:1], 0x18
	v_cndmask_b32_e32 v3, v24, v27, vcc
	v_cmp_ne_u32_e32 vcc, 0, v0
	s_nop 1
	v_cndmask_b32_e32 v0, 0, v3, vcc
	v_add_u32_e32 v0, v0, v22
	v_add_u32_e32 v3, v0, v23
	;; [unrolled: 1-line block ×22, first 2 shown]
	ds_write2_b32 v22, v0, v3 offset1:1
	ds_write2_b32 v22, v20, v21 offset0:2 offset1:3
	ds_write2_b32 v22, v18, v19 offset0:4 offset1:5
	;; [unrolled: 1-line block ×9, first 2 shown]
	ds_write_b32 v22, v1 offset:80
	s_waitcnt lgkmcnt(0)
	s_barrier
	ds_read2st64_b32 v[22:23], v2 offset0:4 offset1:8
	ds_read2st64_b32 v[20:21], v2 offset0:12 offset1:16
	;; [unrolled: 1-line block ×10, first 2 shown]
	v_mov_b32_e32 v3, 0
	v_lshl_add_u64 v[4:5], s[0:1], 0, v[2:3]
	s_and_saveexec_b64 s[0:1], s[16:17]
	s_cbranch_execnz .LBB5_70
; %bb.49:
	s_or_b64 exec, exec, s[0:1]
	s_and_saveexec_b64 s[0:1], s[2:3]
	s_cbranch_execnz .LBB5_71
.LBB5_50:
	s_or_b64 exec, exec, s[0:1]
	s_and_saveexec_b64 s[0:1], s[4:5]
	s_cbranch_execnz .LBB5_72
.LBB5_51:
	s_or_b64 exec, exec, s[0:1]
	s_and_saveexec_b64 s[0:1], s[6:7]
	s_cbranch_execnz .LBB5_73
.LBB5_52:
	s_or_b64 exec, exec, s[0:1]
	s_and_saveexec_b64 s[0:1], s[8:9]
	s_cbranch_execnz .LBB5_74
.LBB5_53:
	s_or_b64 exec, exec, s[0:1]
	s_and_saveexec_b64 s[0:1], s[10:11]
	s_cbranch_execnz .LBB5_75
.LBB5_54:
	s_or_b64 exec, exec, s[0:1]
	s_and_saveexec_b64 s[0:1], s[12:13]
	s_cbranch_execnz .LBB5_76
.LBB5_55:
	s_or_b64 exec, exec, s[0:1]
	s_and_saveexec_b64 s[0:1], s[14:15]
	s_cbranch_execnz .LBB5_77
.LBB5_56:
	s_or_b64 exec, exec, s[0:1]
	s_and_saveexec_b64 s[0:1], s[18:19]
	s_cbranch_execnz .LBB5_78
.LBB5_57:
	s_or_b64 exec, exec, s[0:1]
	s_and_saveexec_b64 s[0:1], s[20:21]
	s_cbranch_execnz .LBB5_79
.LBB5_58:
	s_or_b64 exec, exec, s[0:1]
	s_and_saveexec_b64 s[0:1], s[22:23]
	s_cbranch_execnz .LBB5_80
.LBB5_59:
	s_or_b64 exec, exec, s[0:1]
	s_and_saveexec_b64 s[0:1], s[24:25]
	s_cbranch_execnz .LBB5_81
.LBB5_60:
	s_or_b64 exec, exec, s[0:1]
	s_and_saveexec_b64 s[0:1], s[26:27]
	s_cbranch_execnz .LBB5_82
.LBB5_61:
	s_or_b64 exec, exec, s[0:1]
	s_and_saveexec_b64 s[0:1], s[28:29]
	s_cbranch_execnz .LBB5_83
.LBB5_62:
	s_or_b64 exec, exec, s[0:1]
	s_and_saveexec_b64 s[0:1], s[30:31]
	s_cbranch_execnz .LBB5_84
.LBB5_63:
	s_or_b64 exec, exec, s[0:1]
	s_and_saveexec_b64 s[0:1], s[34:35]
	s_cbranch_execnz .LBB5_85
.LBB5_64:
	s_or_b64 exec, exec, s[0:1]
	s_and_saveexec_b64 s[0:1], s[36:37]
	s_cbranch_execnz .LBB5_86
.LBB5_65:
	s_or_b64 exec, exec, s[0:1]
	s_and_saveexec_b64 s[0:1], s[38:39]
	s_cbranch_execnz .LBB5_87
.LBB5_66:
	s_or_b64 exec, exec, s[0:1]
	s_and_saveexec_b64 s[0:1], s[40:41]
	s_cbranch_execnz .LBB5_88
.LBB5_67:
	s_or_b64 exec, exec, s[0:1]
	s_and_saveexec_b64 s[0:1], s[42:43]
	s_cbranch_execnz .LBB5_89
.LBB5_68:
	s_or_b64 exec, exec, s[0:1]
	s_and_saveexec_b64 s[0:1], s[44:45]
	s_cbranch_execnz .LBB5_90
.LBB5_69:
	s_endpgm
.LBB5_70:
	ds_read_b32 v2, v2
	s_waitcnt lgkmcnt(0)
	global_store_dword v[4:5], v2, off
	s_or_b64 exec, exec, s[0:1]
	s_and_saveexec_b64 s[0:1], s[2:3]
	s_cbranch_execz .LBB5_50
.LBB5_71:
	s_waitcnt lgkmcnt(9)
	global_store_dword v[4:5], v22, off offset:1024
	s_or_b64 exec, exec, s[0:1]
	s_and_saveexec_b64 s[0:1], s[4:5]
	s_cbranch_execz .LBB5_51
.LBB5_72:
	s_waitcnt lgkmcnt(9)
	global_store_dword v[4:5], v23, off offset:2048
	s_or_b64 exec, exec, s[0:1]
	s_and_saveexec_b64 s[0:1], s[6:7]
	s_cbranch_execz .LBB5_52
.LBB5_73:
	s_waitcnt lgkmcnt(8)
	global_store_dword v[4:5], v20, off offset:3072
	s_or_b64 exec, exec, s[0:1]
	s_and_saveexec_b64 s[0:1], s[8:9]
	s_cbranch_execz .LBB5_53
.LBB5_74:
	v_add_co_u32_e32 v2, vcc, 0x1000, v4
	s_nop 1
	v_addc_co_u32_e32 v3, vcc, 0, v5, vcc
	s_waitcnt lgkmcnt(8)
	global_store_dword v[2:3], v21, off
	s_or_b64 exec, exec, s[0:1]
	s_and_saveexec_b64 s[0:1], s[10:11]
	s_cbranch_execz .LBB5_54
.LBB5_75:
	v_add_co_u32_e32 v2, vcc, 0x1000, v4
	s_nop 1
	v_addc_co_u32_e32 v3, vcc, 0, v5, vcc
	s_waitcnt lgkmcnt(7)
	global_store_dword v[2:3], v18, off offset:1024
	s_or_b64 exec, exec, s[0:1]
	s_and_saveexec_b64 s[0:1], s[12:13]
	s_cbranch_execz .LBB5_55
.LBB5_76:
	v_add_co_u32_e32 v2, vcc, 0x1000, v4
	s_nop 1
	v_addc_co_u32_e32 v3, vcc, 0, v5, vcc
	s_waitcnt lgkmcnt(7)
	global_store_dword v[2:3], v19, off offset:2048
	s_or_b64 exec, exec, s[0:1]
	s_and_saveexec_b64 s[0:1], s[14:15]
	s_cbranch_execz .LBB5_56
.LBB5_77:
	v_add_co_u32_e32 v2, vcc, 0x1000, v4
	s_nop 1
	v_addc_co_u32_e32 v3, vcc, 0, v5, vcc
	s_waitcnt lgkmcnt(6)
	global_store_dword v[2:3], v16, off offset:3072
	s_or_b64 exec, exec, s[0:1]
	s_and_saveexec_b64 s[0:1], s[18:19]
	s_cbranch_execz .LBB5_57
.LBB5_78:
	v_add_co_u32_e32 v2, vcc, 0x2000, v4
	s_nop 1
	v_addc_co_u32_e32 v3, vcc, 0, v5, vcc
	s_waitcnt lgkmcnt(6)
	global_store_dword v[2:3], v17, off
	s_or_b64 exec, exec, s[0:1]
	s_and_saveexec_b64 s[0:1], s[20:21]
	s_cbranch_execz .LBB5_58
.LBB5_79:
	v_add_co_u32_e32 v2, vcc, 0x2000, v4
	s_nop 1
	v_addc_co_u32_e32 v3, vcc, 0, v5, vcc
	s_waitcnt lgkmcnt(5)
	global_store_dword v[2:3], v14, off offset:1024
	s_or_b64 exec, exec, s[0:1]
	s_and_saveexec_b64 s[0:1], s[22:23]
	s_cbranch_execz .LBB5_59
.LBB5_80:
	v_add_co_u32_e32 v2, vcc, 0x2000, v4
	s_nop 1
	v_addc_co_u32_e32 v3, vcc, 0, v5, vcc
	s_waitcnt lgkmcnt(5)
	global_store_dword v[2:3], v15, off offset:2048
	s_or_b64 exec, exec, s[0:1]
	s_and_saveexec_b64 s[0:1], s[24:25]
	s_cbranch_execz .LBB5_60
.LBB5_81:
	v_add_co_u32_e32 v2, vcc, 0x2000, v4
	s_nop 1
	v_addc_co_u32_e32 v3, vcc, 0, v5, vcc
	s_waitcnt lgkmcnt(4)
	global_store_dword v[2:3], v12, off offset:3072
	s_or_b64 exec, exec, s[0:1]
	s_and_saveexec_b64 s[0:1], s[26:27]
	s_cbranch_execz .LBB5_61
.LBB5_82:
	v_add_co_u32_e32 v2, vcc, 0x3000, v4
	s_nop 1
	v_addc_co_u32_e32 v3, vcc, 0, v5, vcc
	s_waitcnt lgkmcnt(4)
	global_store_dword v[2:3], v13, off
	s_or_b64 exec, exec, s[0:1]
	s_and_saveexec_b64 s[0:1], s[28:29]
	s_cbranch_execz .LBB5_62
.LBB5_83:
	v_add_co_u32_e32 v2, vcc, 0x3000, v4
	s_nop 1
	v_addc_co_u32_e32 v3, vcc, 0, v5, vcc
	s_waitcnt lgkmcnt(3)
	global_store_dword v[2:3], v10, off offset:1024
	s_or_b64 exec, exec, s[0:1]
	s_and_saveexec_b64 s[0:1], s[30:31]
	s_cbranch_execz .LBB5_63
.LBB5_84:
	v_add_co_u32_e32 v2, vcc, 0x3000, v4
	s_nop 1
	v_addc_co_u32_e32 v3, vcc, 0, v5, vcc
	s_waitcnt lgkmcnt(3)
	global_store_dword v[2:3], v11, off offset:2048
	s_or_b64 exec, exec, s[0:1]
	s_and_saveexec_b64 s[0:1], s[34:35]
	s_cbranch_execz .LBB5_64
.LBB5_85:
	v_add_co_u32_e32 v2, vcc, 0x3000, v4
	s_nop 1
	v_addc_co_u32_e32 v3, vcc, 0, v5, vcc
	s_waitcnt lgkmcnt(2)
	global_store_dword v[2:3], v8, off offset:3072
	s_or_b64 exec, exec, s[0:1]
	s_and_saveexec_b64 s[0:1], s[36:37]
	s_cbranch_execz .LBB5_65
.LBB5_86:
	v_add_co_u32_e32 v2, vcc, 0x4000, v4
	s_nop 1
	v_addc_co_u32_e32 v3, vcc, 0, v5, vcc
	s_waitcnt lgkmcnt(2)
	global_store_dword v[2:3], v9, off
	s_or_b64 exec, exec, s[0:1]
	s_and_saveexec_b64 s[0:1], s[38:39]
	s_cbranch_execz .LBB5_66
.LBB5_87:
	v_add_co_u32_e32 v2, vcc, 0x4000, v4
	s_nop 1
	v_addc_co_u32_e32 v3, vcc, 0, v5, vcc
	s_waitcnt lgkmcnt(1)
	global_store_dword v[2:3], v6, off offset:1024
	s_or_b64 exec, exec, s[0:1]
	s_and_saveexec_b64 s[0:1], s[40:41]
	s_cbranch_execz .LBB5_67
.LBB5_88:
	v_add_co_u32_e32 v2, vcc, 0x4000, v4
	s_nop 1
	v_addc_co_u32_e32 v3, vcc, 0, v5, vcc
	s_waitcnt lgkmcnt(1)
	global_store_dword v[2:3], v7, off offset:2048
	s_or_b64 exec, exec, s[0:1]
	s_and_saveexec_b64 s[0:1], s[42:43]
	s_cbranch_execz .LBB5_68
.LBB5_89:
	v_add_co_u32_e32 v2, vcc, 0x4000, v4
	s_nop 1
	v_addc_co_u32_e32 v3, vcc, 0, v5, vcc
	s_waitcnt lgkmcnt(0)
	global_store_dword v[2:3], v0, off offset:3072
	s_or_b64 exec, exec, s[0:1]
	s_and_saveexec_b64 s[0:1], s[44:45]
	s_cbranch_execz .LBB5_69
.LBB5_90:
	v_add_co_u32_e32 v2, vcc, 0x5000, v4
	s_nop 1
	v_addc_co_u32_e32 v3, vcc, 0, v5, vcc
	s_waitcnt lgkmcnt(0)
	global_store_dword v[2:3], v1, off
	s_endpgm
	.section	.rodata,"a",@progbits
	.p2align	6, 0x0
	.amdhsa_kernel _ZN7rocprim17ROCPRIM_304000_NS6detail18single_scan_kernelILb0ENS1_19wrapped_scan_configINS0_14default_configEiEEPKiPiSt4plusIvEiiEEvT1_mT4_T2_T3_
		.amdhsa_group_segment_fixed_size 21504
		.amdhsa_private_segment_fixed_size 0
		.amdhsa_kernarg_size 36
		.amdhsa_user_sgpr_count 2
		.amdhsa_user_sgpr_dispatch_ptr 0
		.amdhsa_user_sgpr_queue_ptr 0
		.amdhsa_user_sgpr_kernarg_segment_ptr 1
		.amdhsa_user_sgpr_dispatch_id 0
		.amdhsa_user_sgpr_kernarg_preload_length 0
		.amdhsa_user_sgpr_kernarg_preload_offset 0
		.amdhsa_user_sgpr_private_segment_size 0
		.amdhsa_uses_dynamic_stack 0
		.amdhsa_enable_private_segment 0
		.amdhsa_system_sgpr_workgroup_id_x 1
		.amdhsa_system_sgpr_workgroup_id_y 0
		.amdhsa_system_sgpr_workgroup_id_z 0
		.amdhsa_system_sgpr_workgroup_info 0
		.amdhsa_system_vgpr_workitem_id 0
		.amdhsa_next_free_vgpr 29
		.amdhsa_next_free_sgpr 48
		.amdhsa_accum_offset 32
		.amdhsa_reserve_vcc 1
		.amdhsa_float_round_mode_32 0
		.amdhsa_float_round_mode_16_64 0
		.amdhsa_float_denorm_mode_32 3
		.amdhsa_float_denorm_mode_16_64 3
		.amdhsa_dx10_clamp 1
		.amdhsa_ieee_mode 1
		.amdhsa_fp16_overflow 0
		.amdhsa_tg_split 0
		.amdhsa_exception_fp_ieee_invalid_op 0
		.amdhsa_exception_fp_denorm_src 0
		.amdhsa_exception_fp_ieee_div_zero 0
		.amdhsa_exception_fp_ieee_overflow 0
		.amdhsa_exception_fp_ieee_underflow 0
		.amdhsa_exception_fp_ieee_inexact 0
		.amdhsa_exception_int_div_zero 0
	.end_amdhsa_kernel
	.section	.text._ZN7rocprim17ROCPRIM_304000_NS6detail18single_scan_kernelILb0ENS1_19wrapped_scan_configINS0_14default_configEiEEPKiPiSt4plusIvEiiEEvT1_mT4_T2_T3_,"axG",@progbits,_ZN7rocprim17ROCPRIM_304000_NS6detail18single_scan_kernelILb0ENS1_19wrapped_scan_configINS0_14default_configEiEEPKiPiSt4plusIvEiiEEvT1_mT4_T2_T3_,comdat
.Lfunc_end5:
	.size	_ZN7rocprim17ROCPRIM_304000_NS6detail18single_scan_kernelILb0ENS1_19wrapped_scan_configINS0_14default_configEiEEPKiPiSt4plusIvEiiEEvT1_mT4_T2_T3_, .Lfunc_end5-_ZN7rocprim17ROCPRIM_304000_NS6detail18single_scan_kernelILb0ENS1_19wrapped_scan_configINS0_14default_configEiEEPKiPiSt4plusIvEiiEEvT1_mT4_T2_T3_
                                        ; -- End function
	.section	.AMDGPU.csdata,"",@progbits
; Kernel info:
; codeLenInByte = 3192
; NumSgprs: 54
; NumVgprs: 29
; NumAgprs: 0
; TotalNumVgprs: 29
; ScratchSize: 0
; MemoryBound: 0
; FloatMode: 240
; IeeeMode: 1
; LDSByteSize: 21504 bytes/workgroup (compile time only)
; SGPRBlocks: 6
; VGPRBlocks: 3
; NumSGPRsForWavesPerEU: 54
; NumVGPRsForWavesPerEU: 29
; AccumOffset: 32
; Occupancy: 3
; WaveLimiterHint : 0
; COMPUTE_PGM_RSRC2:SCRATCH_EN: 0
; COMPUTE_PGM_RSRC2:USER_SGPR: 2
; COMPUTE_PGM_RSRC2:TRAP_HANDLER: 0
; COMPUTE_PGM_RSRC2:TGID_X_EN: 1
; COMPUTE_PGM_RSRC2:TGID_Y_EN: 0
; COMPUTE_PGM_RSRC2:TGID_Z_EN: 0
; COMPUTE_PGM_RSRC2:TIDIG_COMP_CNT: 0
; COMPUTE_PGM_RSRC3_GFX90A:ACCUM_OFFSET: 7
; COMPUTE_PGM_RSRC3_GFX90A:TG_SPLIT: 0
	.section	.text._ZN7rocprim17ROCPRIM_304000_NS6detail31init_lookback_scan_state_kernelINS1_19lookback_scan_stateIlLb1ELb1EEEEEvT_jjPNS5_10value_typeE,"axG",@progbits,_ZN7rocprim17ROCPRIM_304000_NS6detail31init_lookback_scan_state_kernelINS1_19lookback_scan_stateIlLb1ELb1EEEEEvT_jjPNS5_10value_typeE,comdat
	.protected	_ZN7rocprim17ROCPRIM_304000_NS6detail31init_lookback_scan_state_kernelINS1_19lookback_scan_stateIlLb1ELb1EEEEEvT_jjPNS5_10value_typeE ; -- Begin function _ZN7rocprim17ROCPRIM_304000_NS6detail31init_lookback_scan_state_kernelINS1_19lookback_scan_stateIlLb1ELb1EEEEEvT_jjPNS5_10value_typeE
	.globl	_ZN7rocprim17ROCPRIM_304000_NS6detail31init_lookback_scan_state_kernelINS1_19lookback_scan_stateIlLb1ELb1EEEEEvT_jjPNS5_10value_typeE
	.p2align	8
	.type	_ZN7rocprim17ROCPRIM_304000_NS6detail31init_lookback_scan_state_kernelINS1_19lookback_scan_stateIlLb1ELb1EEEEEvT_jjPNS5_10value_typeE,@function
_ZN7rocprim17ROCPRIM_304000_NS6detail31init_lookback_scan_state_kernelINS1_19lookback_scan_stateIlLb1ELb1EEEEEvT_jjPNS5_10value_typeE: ; @_ZN7rocprim17ROCPRIM_304000_NS6detail31init_lookback_scan_state_kernelINS1_19lookback_scan_stateIlLb1ELb1EEEEEvT_jjPNS5_10value_typeE
; %bb.0:
	s_load_dword s3, s[0:1], 0x24
	s_load_dwordx2 s[8:9], s[0:1], 0x10
	s_load_dwordx4 s[4:7], s[0:1], 0x0
	s_waitcnt lgkmcnt(0)
	s_and_b32 s0, s3, 0xffff
	s_mul_i32 s2, s2, s0
	s_cmp_eq_u64 s[8:9], 0
	v_add_u32_e32 v0, s2, v0
	s_cbranch_scc1 .LBB6_10
; %bb.1:
	s_cmp_lt_u32 s7, s6
	s_cselect_b32 s0, s7, 0
	s_mov_b32 s3, 0
	v_cmp_eq_u32_e32 vcc, s0, v0
	s_and_saveexec_b64 s[0:1], vcc
	s_cbranch_execz .LBB6_9
; %bb.2:
	s_add_i32 s2, s7, 64
	s_lshl_b64 s[2:3], s[2:3], 4
	s_add_u32 s12, s4, s2
	s_addc_u32 s13, s5, s3
	v_mov_b64_e32 v[2:3], s[12:13]
	;;#ASMSTART
	global_load_dwordx4 v[2:5], v[2:3] off sc1	
s_waitcnt vmcnt(0)
	;;#ASMEND
	v_mov_b32_e32 v7, 0
	v_and_b32_e32 v6, 0xff, v4
	s_mov_b64 s[10:11], 0
	v_cmp_eq_u64_e32 vcc, 0, v[6:7]
	s_and_saveexec_b64 s[2:3], vcc
	s_cbranch_execz .LBB6_8
; %bb.3:
	s_mov_b32 s7, 1
	v_mov_b64_e32 v[8:9], s[12:13]
.LBB6_4:                                ; =>This Loop Header: Depth=1
                                        ;     Child Loop BB6_5 Depth 2
	s_max_u32 s12, s7, 1
.LBB6_5:                                ;   Parent Loop BB6_4 Depth=1
                                        ; =>  This Inner Loop Header: Depth=2
	s_add_i32 s12, s12, -1
	s_cmp_eq_u32 s12, 0
	s_sleep 1
	s_cbranch_scc0 .LBB6_5
; %bb.6:                                ;   in Loop: Header=BB6_4 Depth=1
	s_cmp_lt_u32 s7, 32
	s_cselect_b64 s[12:13], -1, 0
	s_cmp_lg_u64 s[12:13], 0
	;;#ASMSTART
	global_load_dwordx4 v[2:5], v[8:9] off sc1	
s_waitcnt vmcnt(0)
	;;#ASMEND
	s_addc_u32 s7, s7, 0
	v_and_b32_e32 v6, 0xff, v4
	v_cmp_ne_u64_e32 vcc, 0, v[6:7]
	s_or_b64 s[10:11], vcc, s[10:11]
	s_andn2_b64 exec, exec, s[10:11]
	s_cbranch_execnz .LBB6_4
; %bb.7:
	s_or_b64 exec, exec, s[10:11]
.LBB6_8:
	s_or_b64 exec, exec, s[2:3]
	v_mov_b32_e32 v1, 0
	global_store_dwordx2 v1, v[2:3], s[8:9]
.LBB6_9:
	s_or_b64 exec, exec, s[0:1]
.LBB6_10:
	v_cmp_gt_u32_e32 vcc, s6, v0
	s_and_saveexec_b64 s[0:1], vcc
	s_cbranch_execnz .LBB6_13
; %bb.11:
	s_or_b64 exec, exec, s[0:1]
	v_cmp_gt_u32_e32 vcc, 64, v0
	s_and_saveexec_b64 s[0:1], vcc
	s_cbranch_execnz .LBB6_14
.LBB6_12:
	s_endpgm
.LBB6_13:
	v_add_u32_e32 v2, 64, v0
	v_mov_b32_e32 v3, 0
	v_lshl_add_u64 v[6:7], v[2:3], 4, s[4:5]
	v_mov_b32_e32 v2, v3
	v_mov_b32_e32 v4, v3
	;; [unrolled: 1-line block ×3, first 2 shown]
	global_store_dwordx4 v[6:7], v[2:5], off
	s_or_b64 exec, exec, s[0:1]
	v_cmp_gt_u32_e32 vcc, 64, v0
	s_and_saveexec_b64 s[0:1], vcc
	s_cbranch_execz .LBB6_12
.LBB6_14:
	v_mov_b32_e32 v1, 0
	v_lshl_add_u64 v[4:5], v[0:1], 4, s[4:5]
	v_mov_b32_e32 v2, 0xff
	v_mov_b32_e32 v0, v1
	;; [unrolled: 1-line block ×3, first 2 shown]
	global_store_dwordx4 v[4:5], v[0:3], off
	s_endpgm
	.section	.rodata,"a",@progbits
	.p2align	6, 0x0
	.amdhsa_kernel _ZN7rocprim17ROCPRIM_304000_NS6detail31init_lookback_scan_state_kernelINS1_19lookback_scan_stateIlLb1ELb1EEEEEvT_jjPNS5_10value_typeE
		.amdhsa_group_segment_fixed_size 0
		.amdhsa_private_segment_fixed_size 0
		.amdhsa_kernarg_size 280
		.amdhsa_user_sgpr_count 2
		.amdhsa_user_sgpr_dispatch_ptr 0
		.amdhsa_user_sgpr_queue_ptr 0
		.amdhsa_user_sgpr_kernarg_segment_ptr 1
		.amdhsa_user_sgpr_dispatch_id 0
		.amdhsa_user_sgpr_kernarg_preload_length 0
		.amdhsa_user_sgpr_kernarg_preload_offset 0
		.amdhsa_user_sgpr_private_segment_size 0
		.amdhsa_uses_dynamic_stack 0
		.amdhsa_enable_private_segment 0
		.amdhsa_system_sgpr_workgroup_id_x 1
		.amdhsa_system_sgpr_workgroup_id_y 0
		.amdhsa_system_sgpr_workgroup_id_z 0
		.amdhsa_system_sgpr_workgroup_info 0
		.amdhsa_system_vgpr_workitem_id 0
		.amdhsa_next_free_vgpr 10
		.amdhsa_next_free_sgpr 14
		.amdhsa_accum_offset 12
		.amdhsa_reserve_vcc 1
		.amdhsa_float_round_mode_32 0
		.amdhsa_float_round_mode_16_64 0
		.amdhsa_float_denorm_mode_32 3
		.amdhsa_float_denorm_mode_16_64 3
		.amdhsa_dx10_clamp 1
		.amdhsa_ieee_mode 1
		.amdhsa_fp16_overflow 0
		.amdhsa_tg_split 0
		.amdhsa_exception_fp_ieee_invalid_op 0
		.amdhsa_exception_fp_denorm_src 0
		.amdhsa_exception_fp_ieee_div_zero 0
		.amdhsa_exception_fp_ieee_overflow 0
		.amdhsa_exception_fp_ieee_underflow 0
		.amdhsa_exception_fp_ieee_inexact 0
		.amdhsa_exception_int_div_zero 0
	.end_amdhsa_kernel
	.section	.text._ZN7rocprim17ROCPRIM_304000_NS6detail31init_lookback_scan_state_kernelINS1_19lookback_scan_stateIlLb1ELb1EEEEEvT_jjPNS5_10value_typeE,"axG",@progbits,_ZN7rocprim17ROCPRIM_304000_NS6detail31init_lookback_scan_state_kernelINS1_19lookback_scan_stateIlLb1ELb1EEEEEvT_jjPNS5_10value_typeE,comdat
.Lfunc_end6:
	.size	_ZN7rocprim17ROCPRIM_304000_NS6detail31init_lookback_scan_state_kernelINS1_19lookback_scan_stateIlLb1ELb1EEEEEvT_jjPNS5_10value_typeE, .Lfunc_end6-_ZN7rocprim17ROCPRIM_304000_NS6detail31init_lookback_scan_state_kernelINS1_19lookback_scan_stateIlLb1ELb1EEEEEvT_jjPNS5_10value_typeE
                                        ; -- End function
	.section	.AMDGPU.csdata,"",@progbits
; Kernel info:
; codeLenInByte = 372
; NumSgprs: 20
; NumVgprs: 10
; NumAgprs: 0
; TotalNumVgprs: 10
; ScratchSize: 0
; MemoryBound: 0
; FloatMode: 240
; IeeeMode: 1
; LDSByteSize: 0 bytes/workgroup (compile time only)
; SGPRBlocks: 2
; VGPRBlocks: 1
; NumSGPRsForWavesPerEU: 20
; NumVGPRsForWavesPerEU: 10
; AccumOffset: 12
; Occupancy: 8
; WaveLimiterHint : 0
; COMPUTE_PGM_RSRC2:SCRATCH_EN: 0
; COMPUTE_PGM_RSRC2:USER_SGPR: 2
; COMPUTE_PGM_RSRC2:TRAP_HANDLER: 0
; COMPUTE_PGM_RSRC2:TGID_X_EN: 1
; COMPUTE_PGM_RSRC2:TGID_Y_EN: 0
; COMPUTE_PGM_RSRC2:TGID_Z_EN: 0
; COMPUTE_PGM_RSRC2:TIDIG_COMP_CNT: 0
; COMPUTE_PGM_RSRC3_GFX90A:ACCUM_OFFSET: 2
; COMPUTE_PGM_RSRC3_GFX90A:TG_SPLIT: 0
	.section	.text._ZN7rocprim17ROCPRIM_304000_NS6detail31init_lookback_scan_state_kernelINS1_19lookback_scan_stateIlLb0ELb1EEEEEvT_jjPNS5_10value_typeE,"axG",@progbits,_ZN7rocprim17ROCPRIM_304000_NS6detail31init_lookback_scan_state_kernelINS1_19lookback_scan_stateIlLb0ELb1EEEEEvT_jjPNS5_10value_typeE,comdat
	.protected	_ZN7rocprim17ROCPRIM_304000_NS6detail31init_lookback_scan_state_kernelINS1_19lookback_scan_stateIlLb0ELb1EEEEEvT_jjPNS5_10value_typeE ; -- Begin function _ZN7rocprim17ROCPRIM_304000_NS6detail31init_lookback_scan_state_kernelINS1_19lookback_scan_stateIlLb0ELb1EEEEEvT_jjPNS5_10value_typeE
	.globl	_ZN7rocprim17ROCPRIM_304000_NS6detail31init_lookback_scan_state_kernelINS1_19lookback_scan_stateIlLb0ELb1EEEEEvT_jjPNS5_10value_typeE
	.p2align	8
	.type	_ZN7rocprim17ROCPRIM_304000_NS6detail31init_lookback_scan_state_kernelINS1_19lookback_scan_stateIlLb0ELb1EEEEEvT_jjPNS5_10value_typeE,@function
_ZN7rocprim17ROCPRIM_304000_NS6detail31init_lookback_scan_state_kernelINS1_19lookback_scan_stateIlLb0ELb1EEEEEvT_jjPNS5_10value_typeE: ; @_ZN7rocprim17ROCPRIM_304000_NS6detail31init_lookback_scan_state_kernelINS1_19lookback_scan_stateIlLb0ELb1EEEEEvT_jjPNS5_10value_typeE
; %bb.0:
	s_load_dword s3, s[0:1], 0x24
	s_load_dwordx2 s[8:9], s[0:1], 0x10
	s_load_dwordx4 s[4:7], s[0:1], 0x0
	s_waitcnt lgkmcnt(0)
	s_and_b32 s0, s3, 0xffff
	s_mul_i32 s2, s2, s0
	s_cmp_eq_u64 s[8:9], 0
	v_add_u32_e32 v0, s2, v0
	s_cbranch_scc1 .LBB7_8
; %bb.1:
	s_cmp_lt_u32 s7, s6
	s_cselect_b32 s0, s7, 0
	s_mov_b32 s3, 0
	v_cmp_eq_u32_e32 vcc, s0, v0
	s_and_saveexec_b64 s[0:1], vcc
	s_cbranch_execz .LBB7_7
; %bb.2:
	s_add_i32 s2, s7, 64
	s_lshl_b64 s[2:3], s[2:3], 4
	s_add_u32 s12, s4, s2
	s_addc_u32 s13, s5, s3
	v_mov_b64_e32 v[2:3], s[12:13]
	;;#ASMSTART
	global_load_dwordx4 v[2:5], v[2:3] off sc1	
s_waitcnt vmcnt(0)
	;;#ASMEND
	v_mov_b32_e32 v7, 0
	v_and_b32_e32 v6, 0xff, v4
	s_mov_b64 s[10:11], 0
	v_cmp_eq_u64_e32 vcc, 0, v[6:7]
	s_and_saveexec_b64 s[2:3], vcc
	s_cbranch_execz .LBB7_6
; %bb.3:
	v_mov_b64_e32 v[8:9], s[12:13]
.LBB7_4:                                ; =>This Inner Loop Header: Depth=1
	;;#ASMSTART
	global_load_dwordx4 v[2:5], v[8:9] off sc1	
s_waitcnt vmcnt(0)
	;;#ASMEND
	s_nop 0
	v_and_b32_e32 v6, 0xff, v4
	v_cmp_ne_u64_e32 vcc, 0, v[6:7]
	s_or_b64 s[10:11], vcc, s[10:11]
	s_andn2_b64 exec, exec, s[10:11]
	s_cbranch_execnz .LBB7_4
; %bb.5:
	s_or_b64 exec, exec, s[10:11]
.LBB7_6:
	s_or_b64 exec, exec, s[2:3]
	v_mov_b32_e32 v1, 0
	global_store_dwordx2 v1, v[2:3], s[8:9]
.LBB7_7:
	s_or_b64 exec, exec, s[0:1]
.LBB7_8:
	v_cmp_gt_u32_e32 vcc, s6, v0
	s_and_saveexec_b64 s[0:1], vcc
	s_cbranch_execnz .LBB7_11
; %bb.9:
	s_or_b64 exec, exec, s[0:1]
	v_cmp_gt_u32_e32 vcc, 64, v0
	s_and_saveexec_b64 s[0:1], vcc
	s_cbranch_execnz .LBB7_12
.LBB7_10:
	s_endpgm
.LBB7_11:
	v_add_u32_e32 v2, 64, v0
	v_mov_b32_e32 v3, 0
	v_lshl_add_u64 v[6:7], v[2:3], 4, s[4:5]
	v_mov_b32_e32 v2, v3
	v_mov_b32_e32 v4, v3
	;; [unrolled: 1-line block ×3, first 2 shown]
	global_store_dwordx4 v[6:7], v[2:5], off
	s_or_b64 exec, exec, s[0:1]
	v_cmp_gt_u32_e32 vcc, 64, v0
	s_and_saveexec_b64 s[0:1], vcc
	s_cbranch_execz .LBB7_10
.LBB7_12:
	v_mov_b32_e32 v1, 0
	v_lshl_add_u64 v[4:5], v[0:1], 4, s[4:5]
	v_mov_b32_e32 v2, 0xff
	v_mov_b32_e32 v0, v1
	;; [unrolled: 1-line block ×3, first 2 shown]
	global_store_dwordx4 v[4:5], v[0:3], off
	s_endpgm
	.section	.rodata,"a",@progbits
	.p2align	6, 0x0
	.amdhsa_kernel _ZN7rocprim17ROCPRIM_304000_NS6detail31init_lookback_scan_state_kernelINS1_19lookback_scan_stateIlLb0ELb1EEEEEvT_jjPNS5_10value_typeE
		.amdhsa_group_segment_fixed_size 0
		.amdhsa_private_segment_fixed_size 0
		.amdhsa_kernarg_size 280
		.amdhsa_user_sgpr_count 2
		.amdhsa_user_sgpr_dispatch_ptr 0
		.amdhsa_user_sgpr_queue_ptr 0
		.amdhsa_user_sgpr_kernarg_segment_ptr 1
		.amdhsa_user_sgpr_dispatch_id 0
		.amdhsa_user_sgpr_kernarg_preload_length 0
		.amdhsa_user_sgpr_kernarg_preload_offset 0
		.amdhsa_user_sgpr_private_segment_size 0
		.amdhsa_uses_dynamic_stack 0
		.amdhsa_enable_private_segment 0
		.amdhsa_system_sgpr_workgroup_id_x 1
		.amdhsa_system_sgpr_workgroup_id_y 0
		.amdhsa_system_sgpr_workgroup_id_z 0
		.amdhsa_system_sgpr_workgroup_info 0
		.amdhsa_system_vgpr_workitem_id 0
		.amdhsa_next_free_vgpr 10
		.amdhsa_next_free_sgpr 14
		.amdhsa_accum_offset 12
		.amdhsa_reserve_vcc 1
		.amdhsa_float_round_mode_32 0
		.amdhsa_float_round_mode_16_64 0
		.amdhsa_float_denorm_mode_32 3
		.amdhsa_float_denorm_mode_16_64 3
		.amdhsa_dx10_clamp 1
		.amdhsa_ieee_mode 1
		.amdhsa_fp16_overflow 0
		.amdhsa_tg_split 0
		.amdhsa_exception_fp_ieee_invalid_op 0
		.amdhsa_exception_fp_denorm_src 0
		.amdhsa_exception_fp_ieee_div_zero 0
		.amdhsa_exception_fp_ieee_overflow 0
		.amdhsa_exception_fp_ieee_underflow 0
		.amdhsa_exception_fp_ieee_inexact 0
		.amdhsa_exception_int_div_zero 0
	.end_amdhsa_kernel
	.section	.text._ZN7rocprim17ROCPRIM_304000_NS6detail31init_lookback_scan_state_kernelINS1_19lookback_scan_stateIlLb0ELb1EEEEEvT_jjPNS5_10value_typeE,"axG",@progbits,_ZN7rocprim17ROCPRIM_304000_NS6detail31init_lookback_scan_state_kernelINS1_19lookback_scan_stateIlLb0ELb1EEEEEvT_jjPNS5_10value_typeE,comdat
.Lfunc_end7:
	.size	_ZN7rocprim17ROCPRIM_304000_NS6detail31init_lookback_scan_state_kernelINS1_19lookback_scan_stateIlLb0ELb1EEEEEvT_jjPNS5_10value_typeE, .Lfunc_end7-_ZN7rocprim17ROCPRIM_304000_NS6detail31init_lookback_scan_state_kernelINS1_19lookback_scan_stateIlLb0ELb1EEEEEvT_jjPNS5_10value_typeE
                                        ; -- End function
	.section	.AMDGPU.csdata,"",@progbits
; Kernel info:
; codeLenInByte = 336
; NumSgprs: 20
; NumVgprs: 10
; NumAgprs: 0
; TotalNumVgprs: 10
; ScratchSize: 0
; MemoryBound: 0
; FloatMode: 240
; IeeeMode: 1
; LDSByteSize: 0 bytes/workgroup (compile time only)
; SGPRBlocks: 2
; VGPRBlocks: 1
; NumSGPRsForWavesPerEU: 20
; NumVGPRsForWavesPerEU: 10
; AccumOffset: 12
; Occupancy: 8
; WaveLimiterHint : 0
; COMPUTE_PGM_RSRC2:SCRATCH_EN: 0
; COMPUTE_PGM_RSRC2:USER_SGPR: 2
; COMPUTE_PGM_RSRC2:TRAP_HANDLER: 0
; COMPUTE_PGM_RSRC2:TGID_X_EN: 1
; COMPUTE_PGM_RSRC2:TGID_Y_EN: 0
; COMPUTE_PGM_RSRC2:TGID_Z_EN: 0
; COMPUTE_PGM_RSRC2:TIDIG_COMP_CNT: 0
; COMPUTE_PGM_RSRC3_GFX90A:ACCUM_OFFSET: 2
; COMPUTE_PGM_RSRC3_GFX90A:TG_SPLIT: 0
	.section	.text._ZN7rocprim17ROCPRIM_304000_NS6detail20lookback_scan_kernelILNS1_25lookback_scan_determinismE0ELb0ENS1_19wrapped_scan_configINS0_14default_configElEEPKlPlSt4plusIvEllNS1_19lookback_scan_stateIlLb1ELb1EEEEEvT2_T3_mT5_T4_T7_jPT6_SK_bb,"axG",@progbits,_ZN7rocprim17ROCPRIM_304000_NS6detail20lookback_scan_kernelILNS1_25lookback_scan_determinismE0ELb0ENS1_19wrapped_scan_configINS0_14default_configElEEPKlPlSt4plusIvEllNS1_19lookback_scan_stateIlLb1ELb1EEEEEvT2_T3_mT5_T4_T7_jPT6_SK_bb,comdat
	.protected	_ZN7rocprim17ROCPRIM_304000_NS6detail20lookback_scan_kernelILNS1_25lookback_scan_determinismE0ELb0ENS1_19wrapped_scan_configINS0_14default_configElEEPKlPlSt4plusIvEllNS1_19lookback_scan_stateIlLb1ELb1EEEEEvT2_T3_mT5_T4_T7_jPT6_SK_bb ; -- Begin function _ZN7rocprim17ROCPRIM_304000_NS6detail20lookback_scan_kernelILNS1_25lookback_scan_determinismE0ELb0ENS1_19wrapped_scan_configINS0_14default_configElEEPKlPlSt4plusIvEllNS1_19lookback_scan_stateIlLb1ELb1EEEEEvT2_T3_mT5_T4_T7_jPT6_SK_bb
	.globl	_ZN7rocprim17ROCPRIM_304000_NS6detail20lookback_scan_kernelILNS1_25lookback_scan_determinismE0ELb0ENS1_19wrapped_scan_configINS0_14default_configElEEPKlPlSt4plusIvEllNS1_19lookback_scan_stateIlLb1ELb1EEEEEvT2_T3_mT5_T4_T7_jPT6_SK_bb
	.p2align	8
	.type	_ZN7rocprim17ROCPRIM_304000_NS6detail20lookback_scan_kernelILNS1_25lookback_scan_determinismE0ELb0ENS1_19wrapped_scan_configINS0_14default_configElEEPKlPlSt4plusIvEllNS1_19lookback_scan_stateIlLb1ELb1EEEEEvT2_T3_mT5_T4_T7_jPT6_SK_bb,@function
_ZN7rocprim17ROCPRIM_304000_NS6detail20lookback_scan_kernelILNS1_25lookback_scan_determinismE0ELb0ENS1_19wrapped_scan_configINS0_14default_configElEEPKlPlSt4plusIvEllNS1_19lookback_scan_stateIlLb1ELb1EEEEEvT2_T3_mT5_T4_T7_jPT6_SK_bb: ; @_ZN7rocprim17ROCPRIM_304000_NS6detail20lookback_scan_kernelILNS1_25lookback_scan_determinismE0ELb0ENS1_19wrapped_scan_configINS0_14default_configElEEPKlPlSt4plusIvEllNS1_19lookback_scan_stateIlLb1ELb1EEEEEvT2_T3_mT5_T4_T7_jPT6_SK_bb
; %bb.0:
	s_endpgm
	.section	.rodata,"a",@progbits
	.p2align	6, 0x0
	.amdhsa_kernel _ZN7rocprim17ROCPRIM_304000_NS6detail20lookback_scan_kernelILNS1_25lookback_scan_determinismE0ELb0ENS1_19wrapped_scan_configINS0_14default_configElEEPKlPlSt4plusIvEllNS1_19lookback_scan_stateIlLb1ELb1EEEEEvT2_T3_mT5_T4_T7_jPT6_SK_bb
		.amdhsa_group_segment_fixed_size 0
		.amdhsa_private_segment_fixed_size 0
		.amdhsa_kernarg_size 76
		.amdhsa_user_sgpr_count 2
		.amdhsa_user_sgpr_dispatch_ptr 0
		.amdhsa_user_sgpr_queue_ptr 0
		.amdhsa_user_sgpr_kernarg_segment_ptr 1
		.amdhsa_user_sgpr_dispatch_id 0
		.amdhsa_user_sgpr_kernarg_preload_length 0
		.amdhsa_user_sgpr_kernarg_preload_offset 0
		.amdhsa_user_sgpr_private_segment_size 0
		.amdhsa_uses_dynamic_stack 0
		.amdhsa_enable_private_segment 0
		.amdhsa_system_sgpr_workgroup_id_x 1
		.amdhsa_system_sgpr_workgroup_id_y 0
		.amdhsa_system_sgpr_workgroup_id_z 0
		.amdhsa_system_sgpr_workgroup_info 0
		.amdhsa_system_vgpr_workitem_id 0
		.amdhsa_next_free_vgpr 1
		.amdhsa_next_free_sgpr 0
		.amdhsa_accum_offset 4
		.amdhsa_reserve_vcc 0
		.amdhsa_float_round_mode_32 0
		.amdhsa_float_round_mode_16_64 0
		.amdhsa_float_denorm_mode_32 3
		.amdhsa_float_denorm_mode_16_64 3
		.amdhsa_dx10_clamp 1
		.amdhsa_ieee_mode 1
		.amdhsa_fp16_overflow 0
		.amdhsa_tg_split 0
		.amdhsa_exception_fp_ieee_invalid_op 0
		.amdhsa_exception_fp_denorm_src 0
		.amdhsa_exception_fp_ieee_div_zero 0
		.amdhsa_exception_fp_ieee_overflow 0
		.amdhsa_exception_fp_ieee_underflow 0
		.amdhsa_exception_fp_ieee_inexact 0
		.amdhsa_exception_int_div_zero 0
	.end_amdhsa_kernel
	.section	.text._ZN7rocprim17ROCPRIM_304000_NS6detail20lookback_scan_kernelILNS1_25lookback_scan_determinismE0ELb0ENS1_19wrapped_scan_configINS0_14default_configElEEPKlPlSt4plusIvEllNS1_19lookback_scan_stateIlLb1ELb1EEEEEvT2_T3_mT5_T4_T7_jPT6_SK_bb,"axG",@progbits,_ZN7rocprim17ROCPRIM_304000_NS6detail20lookback_scan_kernelILNS1_25lookback_scan_determinismE0ELb0ENS1_19wrapped_scan_configINS0_14default_configElEEPKlPlSt4plusIvEllNS1_19lookback_scan_stateIlLb1ELb1EEEEEvT2_T3_mT5_T4_T7_jPT6_SK_bb,comdat
.Lfunc_end8:
	.size	_ZN7rocprim17ROCPRIM_304000_NS6detail20lookback_scan_kernelILNS1_25lookback_scan_determinismE0ELb0ENS1_19wrapped_scan_configINS0_14default_configElEEPKlPlSt4plusIvEllNS1_19lookback_scan_stateIlLb1ELb1EEEEEvT2_T3_mT5_T4_T7_jPT6_SK_bb, .Lfunc_end8-_ZN7rocprim17ROCPRIM_304000_NS6detail20lookback_scan_kernelILNS1_25lookback_scan_determinismE0ELb0ENS1_19wrapped_scan_configINS0_14default_configElEEPKlPlSt4plusIvEllNS1_19lookback_scan_stateIlLb1ELb1EEEEEvT2_T3_mT5_T4_T7_jPT6_SK_bb
                                        ; -- End function
	.section	.AMDGPU.csdata,"",@progbits
; Kernel info:
; codeLenInByte = 4
; NumSgprs: 6
; NumVgprs: 0
; NumAgprs: 0
; TotalNumVgprs: 0
; ScratchSize: 0
; MemoryBound: 0
; FloatMode: 240
; IeeeMode: 1
; LDSByteSize: 0 bytes/workgroup (compile time only)
; SGPRBlocks: 0
; VGPRBlocks: 0
; NumSGPRsForWavesPerEU: 6
; NumVGPRsForWavesPerEU: 1
; AccumOffset: 4
; Occupancy: 8
; WaveLimiterHint : 0
; COMPUTE_PGM_RSRC2:SCRATCH_EN: 0
; COMPUTE_PGM_RSRC2:USER_SGPR: 2
; COMPUTE_PGM_RSRC2:TRAP_HANDLER: 0
; COMPUTE_PGM_RSRC2:TGID_X_EN: 1
; COMPUTE_PGM_RSRC2:TGID_Y_EN: 0
; COMPUTE_PGM_RSRC2:TGID_Z_EN: 0
; COMPUTE_PGM_RSRC2:TIDIG_COMP_CNT: 0
; COMPUTE_PGM_RSRC3_GFX90A:ACCUM_OFFSET: 0
; COMPUTE_PGM_RSRC3_GFX90A:TG_SPLIT: 0
	.section	.text._ZN7rocprim17ROCPRIM_304000_NS6detail20lookback_scan_kernelILNS1_25lookback_scan_determinismE0ELb0ENS1_19wrapped_scan_configINS0_14default_configElEEPKlPlSt4plusIvEllNS1_19lookback_scan_stateIlLb0ELb1EEEEEvT2_T3_mT5_T4_T7_jPT6_SK_bb,"axG",@progbits,_ZN7rocprim17ROCPRIM_304000_NS6detail20lookback_scan_kernelILNS1_25lookback_scan_determinismE0ELb0ENS1_19wrapped_scan_configINS0_14default_configElEEPKlPlSt4plusIvEllNS1_19lookback_scan_stateIlLb0ELb1EEEEEvT2_T3_mT5_T4_T7_jPT6_SK_bb,comdat
	.protected	_ZN7rocprim17ROCPRIM_304000_NS6detail20lookback_scan_kernelILNS1_25lookback_scan_determinismE0ELb0ENS1_19wrapped_scan_configINS0_14default_configElEEPKlPlSt4plusIvEllNS1_19lookback_scan_stateIlLb0ELb1EEEEEvT2_T3_mT5_T4_T7_jPT6_SK_bb ; -- Begin function _ZN7rocprim17ROCPRIM_304000_NS6detail20lookback_scan_kernelILNS1_25lookback_scan_determinismE0ELb0ENS1_19wrapped_scan_configINS0_14default_configElEEPKlPlSt4plusIvEllNS1_19lookback_scan_stateIlLb0ELb1EEEEEvT2_T3_mT5_T4_T7_jPT6_SK_bb
	.globl	_ZN7rocprim17ROCPRIM_304000_NS6detail20lookback_scan_kernelILNS1_25lookback_scan_determinismE0ELb0ENS1_19wrapped_scan_configINS0_14default_configElEEPKlPlSt4plusIvEllNS1_19lookback_scan_stateIlLb0ELb1EEEEEvT2_T3_mT5_T4_T7_jPT6_SK_bb
	.p2align	8
	.type	_ZN7rocprim17ROCPRIM_304000_NS6detail20lookback_scan_kernelILNS1_25lookback_scan_determinismE0ELb0ENS1_19wrapped_scan_configINS0_14default_configElEEPKlPlSt4plusIvEllNS1_19lookback_scan_stateIlLb0ELb1EEEEEvT2_T3_mT5_T4_T7_jPT6_SK_bb,@function
_ZN7rocprim17ROCPRIM_304000_NS6detail20lookback_scan_kernelILNS1_25lookback_scan_determinismE0ELb0ENS1_19wrapped_scan_configINS0_14default_configElEEPKlPlSt4plusIvEllNS1_19lookback_scan_stateIlLb0ELb1EEEEEvT2_T3_mT5_T4_T7_jPT6_SK_bb: ; @_ZN7rocprim17ROCPRIM_304000_NS6detail20lookback_scan_kernelILNS1_25lookback_scan_determinismE0ELb0ENS1_19wrapped_scan_configINS0_14default_configElEEPKlPlSt4plusIvEllNS1_19lookback_scan_stateIlLb0ELb1EEEEEvT2_T3_mT5_T4_T7_jPT6_SK_bb
; %bb.0:
	s_load_dword s3, s[0:1], 0x30
	s_load_dwordx4 s[12:15], s[0:1], 0x0
	s_load_dwordx2 s[4:5], s[0:1], 0x10
	s_mul_i32 s6, s2, 0xf00
	s_mov_b32 s7, 0
	s_waitcnt lgkmcnt(0)
	s_add_i32 s3, s3, -1
	s_mul_i32 s8, s3, 0xf00
	s_sub_u32 s24, s4, s8
	s_subb_u32 s25, s5, 0
	s_cmp_lg_u32 s2, s3
	s_cselect_b64 s[16:17], -1, 0
	s_lshl_b64 s[18:19], s[6:7], 3
	s_add_u32 s6, s12, s18
	s_addc_u32 s7, s13, s19
	s_mov_b64 s[4:5], -1
	s_and_b64 vcc, exec, s[16:17]
	v_lshlrev_b32_e32 v62, 3, v0
	s_cbranch_vccz .LBB9_2
; %bb.1:
	v_mov_b32_e32 v63, 0
	v_lshl_add_u64 v[2:3], s[6:7], 0, v[62:63]
	v_add_co_u32_e32 v8, vcc, 0x1000, v2
	global_load_dwordx2 v[4:5], v62, s[6:7]
	global_load_dwordx2 v[6:7], v62, s[6:7] offset:2048
	v_addc_co_u32_e32 v9, vcc, 0, v3, vcc
	v_add_co_u32_e32 v10, vcc, 0x2000, v2
	s_mov_b64 s[4:5], 0
	s_nop 0
	v_addc_co_u32_e32 v11, vcc, 0, v3, vcc
	global_load_dwordx2 v[12:13], v[8:9], off
	global_load_dwordx2 v[14:15], v[8:9], off offset:2048
	global_load_dwordx2 v[16:17], v[10:11], off
	global_load_dwordx2 v[18:19], v[10:11], off offset:2048
	v_add_co_u32_e32 v8, vcc, 0x3000, v2
	s_nop 1
	v_addc_co_u32_e32 v9, vcc, 0, v3, vcc
	v_add_co_u32_e32 v10, vcc, 0x4000, v2
	s_nop 1
	v_addc_co_u32_e32 v11, vcc, 0, v3, vcc
	global_load_dwordx2 v[20:21], v[8:9], off
	global_load_dwordx2 v[22:23], v[8:9], off offset:2048
	global_load_dwordx2 v[24:25], v[10:11], off
	global_load_dwordx2 v[26:27], v[10:11], off offset:2048
	v_add_co_u32_e32 v8, vcc, 0x5000, v2
	s_nop 1
	v_addc_co_u32_e32 v9, vcc, 0, v3, vcc
	v_add_co_u32_e32 v10, vcc, 0x6000, v2
	s_nop 1
	v_addc_co_u32_e32 v11, vcc, 0, v3, vcc
	global_load_dwordx2 v[28:29], v[8:9], off
	global_load_dwordx2 v[30:31], v[8:9], off offset:2048
	global_load_dwordx2 v[32:33], v[10:11], off
	global_load_dwordx2 v[34:35], v[10:11], off offset:2048
	v_add_co_u32_e32 v2, vcc, 0x7000, v2
	s_nop 1
	v_addc_co_u32_e32 v3, vcc, 0, v3, vcc
	global_load_dwordx2 v[2:3], v[2:3], off
	s_waitcnt vmcnt(13)
	ds_write2st64_b64 v62, v[4:5], v[6:7] offset1:4
	s_waitcnt vmcnt(11)
	ds_write2st64_b64 v62, v[12:13], v[14:15] offset0:8 offset1:12
	s_waitcnt vmcnt(9)
	ds_write2st64_b64 v62, v[16:17], v[18:19] offset0:16 offset1:20
	;; [unrolled: 2-line block ×6, first 2 shown]
	s_waitcnt vmcnt(0)
	ds_write_b64 v62, v[2:3] offset:28672
	s_waitcnt lgkmcnt(0)
	s_barrier
.LBB9_2:
	s_andn2_b64 vcc, exec, s[4:5]
	v_cmp_gt_u32_e64 s[4:5], s24, v0
	s_cbranch_vccnz .LBB9_34
; %bb.3:
	s_load_dwordx2 s[36:37], s[6:7], 0x0
	v_mov_b32_e32 v63, 0
	v_lshl_add_u64 v[34:35], s[6:7], 0, v[62:63]
	s_waitcnt lgkmcnt(0)
	s_mov_b32 s38, s36
	s_mov_b32 s39, s37
	;; [unrolled: 1-line block ×28, first 2 shown]
	v_mov_b64_e32 v[2:3], s[36:37]
	v_mov_b64_e32 v[4:5], s[38:39]
	;; [unrolled: 1-line block ×16, first 2 shown]
	s_and_saveexec_b64 s[6:7], s[4:5]
	s_cbranch_execz .LBB9_5
; %bb.4:
	global_load_dwordx2 v[2:3], v[34:35], off
	v_mov_b32_e32 v4, s36
	v_mov_b32_e32 v5, s37
	;; [unrolled: 1-line block ×28, first 2 shown]
.LBB9_5:
	s_or_b64 exec, exec, s[6:7]
	v_or_b32_e32 v1, 0x100, v0
	v_cmp_gt_u32_e32 vcc, s24, v1
	s_and_saveexec_b64 s[4:5], vcc
	s_cbranch_execz .LBB9_7
; %bb.6:
	global_load_dwordx2 v[4:5], v[34:35], off offset:2048
.LBB9_7:
	s_or_b64 exec, exec, s[4:5]
	v_or_b32_e32 v1, 0x200, v0
	v_cmp_gt_u32_e32 vcc, s24, v1
	s_and_saveexec_b64 s[4:5], vcc
	s_cbranch_execz .LBB9_9
; %bb.8:
	v_add_co_u32_e32 v6, vcc, 0x1000, v34
	s_nop 1
	v_addc_co_u32_e32 v7, vcc, 0, v35, vcc
	global_load_dwordx2 v[6:7], v[6:7], off
.LBB9_9:
	s_or_b64 exec, exec, s[4:5]
	v_or_b32_e32 v1, 0x300, v0
	v_cmp_gt_u32_e32 vcc, s24, v1
	s_and_saveexec_b64 s[4:5], vcc
	s_cbranch_execz .LBB9_11
; %bb.10:
	v_add_co_u32_e32 v8, vcc, 0x1000, v34
	s_nop 1
	v_addc_co_u32_e32 v9, vcc, 0, v35, vcc
	global_load_dwordx2 v[8:9], v[8:9], off offset:2048
.LBB9_11:
	s_or_b64 exec, exec, s[4:5]
	v_or_b32_e32 v1, 0x400, v0
	v_cmp_gt_u32_e32 vcc, s24, v1
	s_and_saveexec_b64 s[4:5], vcc
	s_cbranch_execz .LBB9_13
; %bb.12:
	v_add_co_u32_e32 v10, vcc, 0x2000, v34
	s_nop 1
	v_addc_co_u32_e32 v11, vcc, 0, v35, vcc
	global_load_dwordx2 v[10:11], v[10:11], off
.LBB9_13:
	s_or_b64 exec, exec, s[4:5]
	v_or_b32_e32 v1, 0x500, v0
	v_cmp_gt_u32_e32 vcc, s24, v1
	s_and_saveexec_b64 s[4:5], vcc
	s_cbranch_execz .LBB9_15
; %bb.14:
	v_add_co_u32_e32 v12, vcc, 0x2000, v34
	s_nop 1
	v_addc_co_u32_e32 v13, vcc, 0, v35, vcc
	global_load_dwordx2 v[12:13], v[12:13], off offset:2048
.LBB9_15:
	;; [unrolled: 22-line block ×6, first 2 shown]
	s_or_b64 exec, exec, s[4:5]
	v_or_b32_e32 v1, 0xe00, v0
	v_cmp_gt_u32_e32 vcc, s24, v1
	s_and_saveexec_b64 s[4:5], vcc
	s_cbranch_execz .LBB9_33
; %bb.32:
	v_add_co_u32_e32 v30, vcc, 0x7000, v34
	s_nop 1
	v_addc_co_u32_e32 v31, vcc, 0, v35, vcc
	global_load_dwordx2 v[30:31], v[30:31], off
.LBB9_33:
	s_or_b64 exec, exec, s[4:5]
	s_waitcnt vmcnt(0)
	ds_write2st64_b64 v62, v[2:3], v[4:5] offset1:4
	ds_write2st64_b64 v62, v[6:7], v[8:9] offset0:8 offset1:12
	ds_write2st64_b64 v62, v[10:11], v[12:13] offset0:16 offset1:20
	;; [unrolled: 1-line block ×6, first 2 shown]
	ds_write_b64 v62, v[30:31] offset:28672
	s_waitcnt lgkmcnt(0)
	s_barrier
.LBB9_34:
	v_mul_u32_u24_e32 v66, 15, v0
	v_lshlrev_b32_e32 v1, 3, v66
	ds_read2_b64 v[34:37], v1 offset1:1
	ds_read2_b64 v[38:41], v1 offset0:2 offset1:3
	ds_read2_b64 v[42:45], v1 offset0:4 offset1:5
	;; [unrolled: 1-line block ×6, first 2 shown]
	ds_read_b64 v[64:65], v1 offset:112
	s_load_dwordx2 s[20:21], s[0:1], 0x28
	s_cmp_lg_u32 s2, 0
	v_lshrrev_b32_e32 v1, 5, v0
	v_cmp_gt_u32_e32 vcc, 64, v0
	s_waitcnt lgkmcnt(0)
	s_barrier
	s_cbranch_scc0 .LBB9_59
; %bb.35:
	v_lshl_add_u64 v[2:3], v[36:37], 0, v[34:35]
	v_lshl_add_u64 v[2:3], v[2:3], 0, v[38:39]
	;; [unrolled: 1-line block ×14, first 2 shown]
	v_add_lshl_u32 v4, v1, v0, 3
	ds_write_b64 v4, v[2:3]
	s_waitcnt lgkmcnt(0)
	s_barrier
	s_and_saveexec_b64 s[6:7], vcc
	s_cbranch_execz .LBB9_37
; %bb.36:
	v_lshlrev_b32_e32 v4, 2, v0
	v_lshrrev_b32_e32 v5, 3, v0
	v_add_lshl_u32 v20, v5, v4, 3
	ds_read2_b64 v[4:7], v20 offset1:1
	ds_read2_b64 v[8:11], v20 offset0:2 offset1:3
	v_mbcnt_lo_u32_b32 v13, -1, 0
	v_mov_b32_e32 v12, 0
	v_mbcnt_hi_u32_b32 v21, -1, v13
	s_waitcnt lgkmcnt(1)
	v_lshl_add_u64 v[14:15], v[6:7], 0, v[4:5]
	s_waitcnt lgkmcnt(0)
	v_lshl_add_u64 v[14:15], v[14:15], 0, v[8:9]
	v_lshl_add_u64 v[14:15], v[14:15], 0, v[10:11]
	v_and_b32_e32 v22, 15, v21
	v_mov_b32_e32 v17, v12
	v_mov_b32_dpp v16, v14 row_shr:1 row_mask:0xf bank_mask:0xf
	v_mov_b32_dpp v13, v15 row_shr:1 row_mask:0xf bank_mask:0xf
	v_lshl_add_u64 v[16:17], v[14:15], 0, v[16:17]
	v_cmp_eq_u32_e64 s[4:5], 0, v22
	v_lshl_add_u64 v[18:19], v[12:13], 0, v[16:17]
	v_mov_b32_e32 v17, v12
	v_cndmask_b32_e64 v23, v16, v14, s[4:5]
	v_cndmask_b32_e64 v15, v19, v15, s[4:5]
	v_cndmask_b32_e64 v14, v18, v14, s[4:5]
	v_mov_b32_dpp v16, v23 row_shr:2 row_mask:0xf bank_mask:0xf
	v_mov_b32_dpp v13, v15 row_shr:2 row_mask:0xf bank_mask:0xf
	v_lshl_add_u64 v[16:17], v[14:15], 0, v[16:17]
	v_cmp_lt_u32_e64 s[4:5], 1, v22
	v_lshl_add_u64 v[18:19], v[16:17], 0, v[12:13]
	v_mov_b32_e32 v17, v12
	v_cndmask_b32_e64 v23, v23, v16, s[4:5]
	v_cndmask_b32_e64 v15, v15, v19, s[4:5]
	v_cndmask_b32_e64 v14, v14, v18, s[4:5]
	v_mov_b32_dpp v16, v23 row_shr:4 row_mask:0xf bank_mask:0xf
	v_mov_b32_dpp v13, v15 row_shr:4 row_mask:0xf bank_mask:0xf
	v_lshl_add_u64 v[16:17], v[14:15], 0, v[16:17]
	v_cmp_lt_u32_e64 s[4:5], 3, v22
	;; [unrolled: 9-line block ×3, first 2 shown]
	v_lshl_add_u64 v[18:19], v[16:17], 0, v[12:13]
	v_mov_b32_e32 v17, v12
	v_cndmask_b32_e64 v22, v23, v16, s[4:5]
	v_cndmask_b32_e64 v15, v15, v19, s[4:5]
	v_cndmask_b32_e64 v14, v14, v18, s[4:5]
	v_mov_b32_dpp v16, v22 row_bcast:15 row_mask:0xf bank_mask:0xf
	v_and_b32_e32 v23, 16, v21
	v_mov_b32_dpp v13, v15 row_bcast:15 row_mask:0xf bank_mask:0xf
	v_lshl_add_u64 v[16:17], v[14:15], 0, v[16:17]
	v_cmp_eq_u32_e64 s[4:5], 0, v23
	v_lshl_add_u64 v[18:19], v[16:17], 0, v[12:13]
	v_mov_b32_e32 v17, v12
	v_cndmask_b32_e64 v13, v16, v22, s[4:5]
	v_cndmask_b32_e64 v15, v19, v15, s[4:5]
	;; [unrolled: 1-line block ×3, first 2 shown]
	v_mov_b32_dpp v16, v13 row_bcast:31 row_mask:0xf bank_mask:0xf
	v_mov_b32_dpp v18, v15 row_bcast:31 row_mask:0xf bank_mask:0xf
	v_lshl_add_u64 v[16:17], v[14:15], 0, v[16:17]
	v_add_u32_e32 v14, v18, v17
	v_cmp_lt_u32_e64 s[4:5], 31, v21
	s_nop 1
	v_cndmask_b32_e64 v13, v13, v16, s[4:5]
	v_cndmask_b32_e64 v15, v15, v14, s[4:5]
	v_add_u32_e32 v14, -1, v21
	v_and_b32_e32 v16, 64, v21
	v_cmp_lt_i32_e64 s[4:5], v14, v16
	s_nop 1
	v_cndmask_b32_e64 v14, v14, v21, s[4:5]
	v_lshlrev_b32_e32 v16, 2, v14
	ds_bpermute_b32 v14, v16, v13
	ds_bpermute_b32 v13, v16, v15
	v_mov_b32_e32 v15, v12
	v_cmp_eq_u32_e64 s[4:5], 0, v0
	s_waitcnt lgkmcnt(1)
	v_lshl_add_u64 v[4:5], v[4:5], 0, v[14:15]
	s_waitcnt lgkmcnt(0)
	v_lshl_add_u64 v[4:5], v[4:5], 0, v[12:13]
	v_cndmask_b32_e64 v3, v5, v3, s[4:5]
	v_cndmask_b32_e64 v2, v4, v2, s[4:5]
	v_lshl_add_u64 v[4:5], v[2:3], 0, v[6:7]
	ds_write2_b64 v20, v[2:3], v[4:5] offset1:1
	v_lshl_add_u64 v[2:3], v[4:5], 0, v[8:9]
	v_lshl_add_u64 v[4:5], v[2:3], 0, v[10:11]
	ds_write2_b64 v20, v[2:3], v[4:5] offset0:2 offset1:3
.LBB9_37:
	s_or_b64 exec, exec, s[6:7]
	v_cmp_eq_u32_e64 s[6:7], 0, v0
	v_cmp_ne_u32_e64 s[4:5], 0, v0
	v_mov_b64_e32 v[10:11], 0
	s_waitcnt lgkmcnt(0)
	s_barrier
	s_and_saveexec_b64 s[8:9], s[4:5]
	s_cbranch_execz .LBB9_39
; %bb.38:
	v_add_u32_e32 v2, -1, v0
	v_lshrrev_b32_e32 v3, 5, v2
	v_add_lshl_u32 v2, v3, v2, 3
	ds_read_b64 v[10:11], v2
.LBB9_39:
	s_or_b64 exec, exec, s[8:9]
	s_and_saveexec_b64 s[22:23], vcc
	s_cbranch_execz .LBB9_58
; %bb.40:
	v_mov_b32_e32 v5, 0
	ds_read_b64 v[2:3], v5 offset:2096
	v_mbcnt_lo_u32_b32 v4, -1, 0
	v_mbcnt_hi_u32_b32 v16, -1, v4
	s_mov_b32 s11, 0
	v_cmp_eq_u32_e64 s[4:5], 0, v16
	s_and_saveexec_b64 s[8:9], s[4:5]
	s_cbranch_execz .LBB9_42
; %bb.41:
	s_add_i32 s10, s2, 64
	s_lshl_b64 s[10:11], s[10:11], 4
	s_add_u32 s10, s20, s10
	s_addc_u32 s11, s21, s11
	v_mov_b32_e32 v4, 1
	v_mov_b64_e32 v[6:7], s[10:11]
	s_waitcnt lgkmcnt(0)
	;;#ASMSTART
	global_store_dwordx4 v[6:7], v[2:5] off sc1	
s_waitcnt vmcnt(0)
	;;#ASMEND
.LBB9_42:
	s_or_b64 exec, exec, s[8:9]
	v_xad_u32 v12, v16, -1, s2
	v_add_u32_e32 v4, 64, v12
	v_lshl_add_u64 v[14:15], v[4:5], 4, s[20:21]
	;;#ASMSTART
	global_load_dwordx4 v[6:9], v[14:15] off sc1	
s_waitcnt vmcnt(0)
	;;#ASMEND
	s_nop 0
	v_cmp_eq_u16_sdwa s[10:11], v8, v5 src0_sel:BYTE_0 src1_sel:DWORD
	s_and_saveexec_b64 s[8:9], s[10:11]
	s_cbranch_execz .LBB9_46
; %bb.43:
	s_mov_b64 s[10:11], 0
	v_mov_b32_e32 v4, 0
.LBB9_44:                               ; =>This Inner Loop Header: Depth=1
	;;#ASMSTART
	global_load_dwordx4 v[6:9], v[14:15] off sc1	
s_waitcnt vmcnt(0)
	;;#ASMEND
	s_nop 0
	v_cmp_ne_u16_sdwa s[12:13], v8, v4 src0_sel:BYTE_0 src1_sel:DWORD
	s_or_b64 s[10:11], s[12:13], s[10:11]
	s_andn2_b64 exec, exec, s[10:11]
	s_cbranch_execnz .LBB9_44
; %bb.45:
	s_or_b64 exec, exec, s[10:11]
.LBB9_46:
	s_or_b64 exec, exec, s[8:9]
	v_and_b32_e32 v17, 63, v16
	v_mov_b32_e32 v18, 2
	v_cmp_ne_u32_e32 vcc, 63, v17
	v_cmp_eq_u16_sdwa s[8:9], v8, v18 src0_sel:BYTE_0 src1_sel:DWORD
	v_lshlrev_b64 v[4:5], v16, -1
	v_addc_co_u32_e32 v14, vcc, 0, v16, vcc
	v_and_b32_e32 v9, s9, v5
	v_lshlrev_b32_e32 v19, 2, v14
	v_or_b32_e32 v9, 0x80000000, v9
	ds_bpermute_b32 v14, v19, v6
	v_and_b32_e32 v13, s8, v4
	v_ffbl_b32_e32 v9, v9
	ds_bpermute_b32 v23, v19, v7
	v_add_u32_e32 v9, 32, v9
	v_ffbl_b32_e32 v13, v13
	v_min_u32_e32 v9, v13, v9
	v_mov_b32_e32 v13, 0
	v_add_u32_e32 v20, 1, v16
	v_mov_b32_e32 v15, v13
	v_mov_b32_e32 v22, v13
	s_waitcnt lgkmcnt(1)
	v_lshl_add_u64 v[14:15], v[6:7], 0, v[14:15]
	v_cmp_le_u32_e32 vcc, v20, v9
	v_cmp_gt_u32_e64 s[8:9], 62, v17
	s_waitcnt lgkmcnt(0)
	v_lshl_add_u64 v[22:23], v[22:23], 0, v[14:15]
	v_cndmask_b32_e32 v26, v6, v14, vcc
	v_cndmask_b32_e64 v14, 0, 1, s[8:9]
	v_lshlrev_b32_e32 v14, 1, v14
	v_cndmask_b32_e32 v15, v7, v23, vcc
	v_add_lshl_u32 v21, v14, v16, 2
	ds_bpermute_b32 v24, v21, v26
	ds_bpermute_b32 v25, v21, v15
	v_cmp_gt_u32_e64 s[10:11], 60, v17
	v_cndmask_b32_e32 v14, v6, v22, vcc
	v_add_u32_e32 v22, 2, v16
	v_cndmask_b32_e64 v23, 0, 1, s[10:11]
	s_waitcnt lgkmcnt(0)
	v_lshl_add_u64 v[24:25], v[24:25], 0, v[14:15]
	v_cmp_le_u32_e64 s[8:9], v22, v9
	v_lshlrev_b32_e32 v23, 2, v23
	v_add_lshl_u32 v23, v23, v16, 2
	v_cndmask_b32_e64 v28, v26, v24, s[8:9]
	v_cndmask_b32_e64 v15, v15, v25, s[8:9]
	ds_bpermute_b32 v26, v23, v28
	ds_bpermute_b32 v27, v23, v15
	v_cmp_gt_u32_e64 s[12:13], 56, v17
	v_cndmask_b32_e64 v14, v14, v24, s[8:9]
	v_add_u32_e32 v24, 4, v16
	v_cndmask_b32_e64 v25, 0, 1, s[12:13]
	s_waitcnt lgkmcnt(0)
	v_lshl_add_u64 v[26:27], v[26:27], 0, v[14:15]
	v_cmp_le_u32_e64 s[10:11], v24, v9
	v_lshlrev_b32_e32 v25, 3, v25
	v_add_lshl_u32 v25, v25, v16, 2
	v_cndmask_b32_e64 v30, v28, v26, s[10:11]
	v_cndmask_b32_e64 v15, v15, v27, s[10:11]
	ds_bpermute_b32 v28, v25, v30
	ds_bpermute_b32 v29, v25, v15
	s_or_b64 s[12:13], vcc, s[8:9]
	v_cmp_gt_u32_e64 s[8:9], 48, v17
	v_cndmask_b32_e64 v14, v14, v26, s[10:11]
	v_add_u32_e32 v26, 8, v16
	v_cndmask_b32_e64 v27, 0, 1, s[8:9]
	s_waitcnt lgkmcnt(0)
	v_lshl_add_u64 v[28:29], v[28:29], 0, v[14:15]
	v_cmp_le_u32_e32 vcc, v26, v9
	v_lshlrev_b32_e32 v27, 4, v27
	v_add_lshl_u32 v27, v27, v16, 2
	v_cndmask_b32_e32 v63, v30, v28, vcc
	v_cndmask_b32_e32 v15, v15, v29, vcc
	ds_bpermute_b32 v30, v27, v63
	ds_bpermute_b32 v31, v27, v15
	s_or_b64 s[8:9], s[10:11], s[12:13]
	v_cndmask_b32_e32 v14, v14, v28, vcc
	v_add_u32_e32 v28, 16, v16
	s_or_b64 s[8:9], vcc, s[8:9]
	v_cmp_le_u32_e32 vcc, v28, v9
	s_or_b64 s[10:11], vcc, s[8:9]
	v_cmp_gt_u32_e64 s[8:9], 32, v17
	s_waitcnt lgkmcnt(0)
	v_lshl_add_u64 v[32:33], v[30:31], 0, v[14:15]
	v_cndmask_b32_e32 v30, v63, v32, vcc
	v_cndmask_b32_e64 v17, 0, 1, s[8:9]
	v_lshlrev_b32_e32 v17, 5, v17
	v_add_lshl_u32 v29, v17, v16, 2
	v_cndmask_b32_e32 v15, v15, v33, vcc
	ds_bpermute_b32 v17, v29, v15
	ds_bpermute_b32 v31, v29, v30
	v_add_u32_e32 v30, 32, v16
	v_cndmask_b32_e32 v14, v14, v32, vcc
	v_cmp_le_u32_e32 vcc, v30, v9
	s_waitcnt lgkmcnt(1)
	s_nop 0
	v_cndmask_b32_e32 v17, 0, v17, vcc
	s_waitcnt lgkmcnt(0)
	v_cndmask_b32_e32 v16, 0, v31, vcc
	v_lshl_add_u64 v[14:15], v[16:17], 0, v[14:15]
	s_or_b64 vcc, vcc, s[10:11]
	v_cndmask_b32_e32 v7, v7, v15, vcc
	v_cndmask_b32_e32 v6, v6, v14, vcc
	s_branch .LBB9_48
.LBB9_47:                               ;   in Loop: Header=BB9_48 Depth=1
	s_or_b64 exec, exec, s[8:9]
	v_cmp_eq_u16_sdwa s[8:9], v8, v18 src0_sel:BYTE_0 src1_sel:DWORD
	v_subrev_u32_e32 v9, 64, v12
	ds_bpermute_b32 v17, v19, v7
	v_and_b32_e32 v12, s9, v5
	v_or_b32_e32 v12, 0x80000000, v12
	v_ffbl_b32_e32 v12, v12
	v_add_u32_e32 v31, 32, v12
	ds_bpermute_b32 v12, v19, v6
	v_and_b32_e32 v16, s8, v4
	v_ffbl_b32_e32 v16, v16
	v_min_u32_e32 v31, v16, v31
	v_mov_b32_e32 v16, v13
	s_waitcnt lgkmcnt(0)
	v_lshl_add_u64 v[32:33], v[6:7], 0, v[12:13]
	v_lshl_add_u64 v[16:17], v[16:17], 0, v[32:33]
	v_cmp_le_u32_e32 vcc, v20, v31
	v_cmp_le_u32_e64 s[8:9], v22, v31
	v_cmp_le_u32_e64 s[10:11], v24, v31
	v_cndmask_b32_e32 v12, v6, v32, vcc
	v_cndmask_b32_e32 v17, v7, v17, vcc
	ds_bpermute_b32 v32, v21, v12
	ds_bpermute_b32 v33, v21, v17
	v_cndmask_b32_e32 v16, v6, v16, vcc
	v_cmp_le_u32_e64 s[12:13], v26, v31
	s_waitcnt lgkmcnt(0)
	v_lshl_add_u64 v[32:33], v[32:33], 0, v[16:17]
	v_cndmask_b32_e64 v12, v12, v32, s[8:9]
	v_cndmask_b32_e64 v17, v17, v33, s[8:9]
	ds_bpermute_b32 v68, v23, v12
	ds_bpermute_b32 v69, v23, v17
	v_cndmask_b32_e64 v16, v16, v32, s[8:9]
	s_or_b64 s[8:9], vcc, s[8:9]
	v_cmp_le_u32_e32 vcc, v28, v31
	s_or_b64 s[8:9], s[10:11], s[8:9]
	s_waitcnt lgkmcnt(0)
	v_lshl_add_u64 v[32:33], v[68:69], 0, v[16:17]
	v_cndmask_b32_e64 v12, v12, v32, s[10:11]
	v_cndmask_b32_e64 v17, v17, v33, s[10:11]
	ds_bpermute_b32 v68, v25, v12
	ds_bpermute_b32 v69, v25, v17
	v_cndmask_b32_e64 v16, v16, v32, s[10:11]
	s_or_b64 s[8:9], s[12:13], s[8:9]
	s_or_b64 s[8:9], vcc, s[8:9]
	s_waitcnt lgkmcnt(0)
	v_lshl_add_u64 v[32:33], v[68:69], 0, v[16:17]
	v_cndmask_b32_e64 v12, v12, v32, s[12:13]
	v_cndmask_b32_e64 v17, v17, v33, s[12:13]
	ds_bpermute_b32 v68, v27, v12
	ds_bpermute_b32 v69, v27, v17
	v_cndmask_b32_e64 v16, v16, v32, s[12:13]
	s_waitcnt lgkmcnt(0)
	v_lshl_add_u64 v[32:33], v[68:69], 0, v[16:17]
	v_cndmask_b32_e32 v12, v12, v32, vcc
	v_cndmask_b32_e32 v17, v17, v33, vcc
	ds_bpermute_b32 v33, v29, v17
	ds_bpermute_b32 v12, v29, v12
	v_cndmask_b32_e32 v16, v16, v32, vcc
	v_cmp_le_u32_e32 vcc, v30, v31
	s_waitcnt lgkmcnt(1)
	s_nop 0
	v_cndmask_b32_e32 v33, 0, v33, vcc
	s_waitcnt lgkmcnt(0)
	v_cndmask_b32_e32 v32, 0, v12, vcc
	v_lshl_add_u64 v[16:17], v[32:33], 0, v[16:17]
	s_or_b64 vcc, vcc, s[8:9]
	v_cndmask_b32_e32 v7, v7, v17, vcc
	v_cndmask_b32_e32 v6, v6, v16, vcc
	v_lshl_add_u64 v[6:7], v[6:7], 0, v[14:15]
	v_mov_b32_e32 v12, v9
.LBB9_48:                               ; =>This Loop Header: Depth=1
                                        ;     Child Loop BB9_51 Depth 2
	v_cmp_ne_u16_sdwa s[8:9], v8, v18 src0_sel:BYTE_0 src1_sel:DWORD
	v_mov_b64_e32 v[14:15], v[6:7]
	s_nop 0
	v_cndmask_b32_e64 v8, 0, 1, s[8:9]
	;;#ASMSTART
	;;#ASMEND
	s_nop 0
	v_cmp_ne_u32_e32 vcc, 0, v8
	s_cmp_lg_u64 vcc, exec
	s_cbranch_scc1 .LBB9_53
; %bb.49:                               ;   in Loop: Header=BB9_48 Depth=1
	v_lshl_add_u64 v[16:17], v[12:13], 4, s[20:21]
	;;#ASMSTART
	global_load_dwordx4 v[6:9], v[16:17] off sc1	
s_waitcnt vmcnt(0)
	;;#ASMEND
	s_nop 0
	v_cmp_eq_u16_sdwa s[10:11], v8, v13 src0_sel:BYTE_0 src1_sel:DWORD
	s_and_saveexec_b64 s[8:9], s[10:11]
	s_cbranch_execz .LBB9_47
; %bb.50:                               ;   in Loop: Header=BB9_48 Depth=1
	s_mov_b64 s[10:11], 0
.LBB9_51:                               ;   Parent Loop BB9_48 Depth=1
                                        ; =>  This Inner Loop Header: Depth=2
	;;#ASMSTART
	global_load_dwordx4 v[6:9], v[16:17] off sc1	
s_waitcnt vmcnt(0)
	;;#ASMEND
	s_nop 0
	v_cmp_ne_u16_sdwa s[12:13], v8, v13 src0_sel:BYTE_0 src1_sel:DWORD
	s_or_b64 s[10:11], s[12:13], s[10:11]
	s_andn2_b64 exec, exec, s[10:11]
	s_cbranch_execnz .LBB9_51
; %bb.52:                               ;   in Loop: Header=BB9_48 Depth=1
	s_or_b64 exec, exec, s[10:11]
	s_branch .LBB9_47
.LBB9_53:                               ;   in Loop: Header=BB9_48 Depth=1
                                        ; implicit-def: $vgpr6_vgpr7
                                        ; implicit-def: $vgpr8
	s_cbranch_execz .LBB9_48
; %bb.54:
	s_and_saveexec_b64 s[8:9], s[4:5]
	s_cbranch_execz .LBB9_56
; %bb.55:
	s_add_i32 s2, s2, 64
	s_mov_b32 s3, 0
	s_lshl_b64 s[2:3], s[2:3], 4
	s_add_u32 s2, s20, s2
	s_addc_u32 s3, s21, s3
	v_lshl_add_u64 v[2:3], v[14:15], 0, v[2:3]
	v_mov_b32_e32 v4, 2
	v_mov_b32_e32 v5, 0
	v_mov_b64_e32 v[6:7], s[2:3]
	;;#ASMSTART
	global_store_dwordx4 v[6:7], v[2:5] off sc1	
s_waitcnt vmcnt(0)
	;;#ASMEND
.LBB9_56:
	s_or_b64 exec, exec, s[8:9]
	s_and_b64 exec, exec, s[6:7]
	s_cbranch_execz .LBB9_58
; %bb.57:
	v_mov_b32_e32 v2, 0
	ds_write_b64 v2, v[14:15]
.LBB9_58:
	s_or_b64 exec, exec, s[22:23]
	v_mov_b32_e32 v2, 0
	s_waitcnt lgkmcnt(0)
	s_barrier
	ds_read_b64 v[2:3], v2
	v_lshl_add_u64 v[4:5], v[10:11], 0, v[34:35]
	s_waitcnt lgkmcnt(0)
	v_lshl_add_u64 v[2:3], v[4:5], 0, v[2:3]
	v_lshl_add_u64 v[4:5], v[2:3], 0, v[36:37]
	;; [unrolled: 1-line block ×15, first 2 shown]
	s_load_dwordx4 s[4:7], s[0:1], 0x38
	s_branch .LBB9_69
.LBB9_59:
                                        ; implicit-def: $vgpr2_vgpr3_vgpr4_vgpr5_vgpr6_vgpr7_vgpr8_vgpr9_vgpr10_vgpr11_vgpr12_vgpr13_vgpr14_vgpr15_vgpr16_vgpr17_vgpr18_vgpr19_vgpr20_vgpr21_vgpr22_vgpr23_vgpr24_vgpr25_vgpr26_vgpr27_vgpr28_vgpr29_vgpr30_vgpr31_vgpr32_vgpr33
	s_load_dwordx4 s[4:7], s[0:1], 0x38
	s_cbranch_execz .LBB9_69
; %bb.60:
	s_load_dword s8, s[0:1], 0x48
	v_cmp_eq_u32_e32 vcc, 0, v0
	v_cmp_ne_u32_e64 s[2:3], 0, v0
	s_waitcnt lgkmcnt(0)
	s_bitcmp1_b32 s8, 0
	s_cselect_b64 s[8:9], -1, 0
	s_and_b64 s[10:11], vcc, s[8:9]
	s_and_saveexec_b64 s[8:9], s[10:11]
	s_cbranch_execz .LBB9_62
; %bb.61:
	s_load_dwordx2 s[4:5], s[4:5], 0x0
	s_waitcnt lgkmcnt(0)
	v_lshl_add_u64 v[34:35], s[4:5], 0, v[34:35]
.LBB9_62:
	s_or_b64 exec, exec, s[8:9]
	v_lshl_add_u64 v[2:3], v[36:37], 0, v[34:35]
	v_lshl_add_u64 v[2:3], v[2:3], 0, v[38:39]
	;; [unrolled: 1-line block ×14, first 2 shown]
	v_add_lshl_u32 v1, v1, v0, 3
	v_cmp_gt_u32_e64 s[4:5], 64, v0
	ds_write_b64 v1, v[2:3]
	s_waitcnt lgkmcnt(0)
	s_barrier
	s_and_saveexec_b64 s[8:9], s[4:5]
	s_cbranch_execz .LBB9_64
; %bb.63:
	v_lshlrev_b32_e32 v1, 2, v0
	v_lshrrev_b32_e32 v4, 3, v0
	v_add_lshl_u32 v1, v4, v1, 3
	ds_read2_b64 v[4:7], v1 offset1:1
	ds_read2_b64 v[8:11], v1 offset0:2 offset1:3
	v_mbcnt_lo_u32_b32 v13, -1, 0
	v_mov_b32_e32 v12, 0
	v_mbcnt_hi_u32_b32 v20, -1, v13
	s_waitcnt lgkmcnt(1)
	v_lshl_add_u64 v[14:15], v[6:7], 0, v[4:5]
	s_waitcnt lgkmcnt(0)
	v_lshl_add_u64 v[14:15], v[14:15], 0, v[8:9]
	v_lshl_add_u64 v[14:15], v[14:15], 0, v[10:11]
	v_and_b32_e32 v21, 15, v20
	v_mov_b32_e32 v17, v12
	v_mov_b32_dpp v16, v14 row_shr:1 row_mask:0xf bank_mask:0xf
	v_mov_b32_dpp v13, v15 row_shr:1 row_mask:0xf bank_mask:0xf
	v_lshl_add_u64 v[16:17], v[14:15], 0, v[16:17]
	v_cmp_eq_u32_e64 s[4:5], 0, v21
	v_lshl_add_u64 v[18:19], v[12:13], 0, v[16:17]
	v_mov_b32_e32 v17, v12
	v_cndmask_b32_e64 v22, v16, v14, s[4:5]
	v_cndmask_b32_e64 v15, v19, v15, s[4:5]
	v_cndmask_b32_e64 v14, v18, v14, s[4:5]
	v_mov_b32_dpp v16, v22 row_shr:2 row_mask:0xf bank_mask:0xf
	v_mov_b32_dpp v13, v15 row_shr:2 row_mask:0xf bank_mask:0xf
	v_lshl_add_u64 v[16:17], v[14:15], 0, v[16:17]
	v_cmp_lt_u32_e64 s[4:5], 1, v21
	v_lshl_add_u64 v[18:19], v[16:17], 0, v[12:13]
	v_mov_b32_e32 v17, v12
	v_cndmask_b32_e64 v22, v22, v16, s[4:5]
	v_cndmask_b32_e64 v15, v15, v19, s[4:5]
	v_cndmask_b32_e64 v14, v14, v18, s[4:5]
	v_mov_b32_dpp v16, v22 row_shr:4 row_mask:0xf bank_mask:0xf
	v_mov_b32_dpp v13, v15 row_shr:4 row_mask:0xf bank_mask:0xf
	v_lshl_add_u64 v[16:17], v[14:15], 0, v[16:17]
	v_cmp_lt_u32_e64 s[4:5], 3, v21
	;; [unrolled: 9-line block ×3, first 2 shown]
	v_lshl_add_u64 v[18:19], v[16:17], 0, v[12:13]
	v_mov_b32_e32 v17, v12
	v_cndmask_b32_e64 v21, v22, v16, s[4:5]
	v_cndmask_b32_e64 v15, v15, v19, s[4:5]
	;; [unrolled: 1-line block ×3, first 2 shown]
	v_mov_b32_dpp v16, v21 row_bcast:15 row_mask:0xf bank_mask:0xf
	v_and_b32_e32 v22, 16, v20
	v_mov_b32_dpp v13, v15 row_bcast:15 row_mask:0xf bank_mask:0xf
	v_lshl_add_u64 v[16:17], v[14:15], 0, v[16:17]
	v_cmp_eq_u32_e64 s[4:5], 0, v22
	v_lshl_add_u64 v[18:19], v[16:17], 0, v[12:13]
	v_mov_b32_e32 v17, v12
	v_cndmask_b32_e64 v13, v16, v21, s[4:5]
	v_cndmask_b32_e64 v15, v19, v15, s[4:5]
	;; [unrolled: 1-line block ×3, first 2 shown]
	v_mov_b32_dpp v16, v13 row_bcast:31 row_mask:0xf bank_mask:0xf
	v_mov_b32_dpp v18, v15 row_bcast:31 row_mask:0xf bank_mask:0xf
	v_lshl_add_u64 v[16:17], v[14:15], 0, v[16:17]
	v_add_u32_e32 v14, v18, v17
	v_cmp_lt_u32_e64 s[4:5], 31, v20
	s_nop 1
	v_cndmask_b32_e64 v13, v13, v16, s[4:5]
	v_cndmask_b32_e64 v15, v15, v14, s[4:5]
	v_add_u32_e32 v14, -1, v20
	v_and_b32_e32 v16, 64, v20
	v_cmp_lt_i32_e64 s[4:5], v14, v16
	s_nop 1
	v_cndmask_b32_e64 v14, v14, v20, s[4:5]
	v_lshlrev_b32_e32 v16, 2, v14
	ds_bpermute_b32 v14, v16, v13
	ds_bpermute_b32 v13, v16, v15
	v_mov_b32_e32 v15, v12
	s_waitcnt lgkmcnt(1)
	v_lshl_add_u64 v[4:5], v[4:5], 0, v[14:15]
	s_waitcnt lgkmcnt(0)
	v_lshl_add_u64 v[4:5], v[4:5], 0, v[12:13]
	v_cndmask_b32_e32 v3, v5, v3, vcc
	v_cndmask_b32_e32 v2, v4, v2, vcc
	v_lshl_add_u64 v[4:5], v[2:3], 0, v[6:7]
	ds_write2_b64 v1, v[2:3], v[4:5] offset1:1
	v_lshl_add_u64 v[2:3], v[4:5], 0, v[8:9]
	v_lshl_add_u64 v[4:5], v[2:3], 0, v[10:11]
	ds_write2_b64 v1, v[2:3], v[4:5] offset0:2 offset1:3
.LBB9_64:
	s_or_b64 exec, exec, s[8:9]
	v_mov_b64_e32 v[2:3], 0
	s_waitcnt lgkmcnt(0)
	s_barrier
	s_and_saveexec_b64 s[4:5], s[2:3]
	s_cbranch_execz .LBB9_66
; %bb.65:
	v_add_u32_e32 v1, -1, v0
	v_lshrrev_b32_e32 v2, 5, v1
	v_add_lshl_u32 v1, v2, v1, 3
	ds_read_b64 v[2:3], v1
.LBB9_66:
	s_or_b64 exec, exec, s[4:5]
	s_waitcnt lgkmcnt(0)
	v_lshl_add_u64 v[2:3], v[2:3], 0, v[34:35]
	v_lshl_add_u64 v[4:5], v[2:3], 0, v[36:37]
	;; [unrolled: 1-line block ×15, first 2 shown]
	s_and_saveexec_b64 s[2:3], vcc
	s_cbranch_execz .LBB9_68
; %bb.67:
	s_add_u32 s4, s20, 0x400
	v_mov_b32_e32 v35, 0
	s_addc_u32 s5, s21, 0
	ds_read_b64 v[32:33], v35 offset:2096
	v_mov_b32_e32 v34, 2
	v_mov_b64_e32 v[36:37], s[4:5]
	s_waitcnt lgkmcnt(0)
	;;#ASMSTART
	global_store_dwordx4 v[36:37], v[32:35] off sc1	
s_waitcnt vmcnt(0)
	;;#ASMEND
.LBB9_68:
	s_or_b64 exec, exec, s[2:3]
.LBB9_69:
	s_add_u32 s2, s14, s18
	s_addc_u32 s3, s15, s19
	s_waitcnt lgkmcnt(0)
	s_mov_b64 s[4:5], -1
	s_and_b64 vcc, exec, s[16:17]
	s_barrier
	s_cbranch_vccz .LBB9_71
; %bb.70:
	v_mul_u32_u24_e32 v1, 0x78, v0
	s_movk_i32 s4, 0x78
	ds_write2_b64 v1, v[2:3], v[4:5] offset1:1
	ds_write2_b64 v1, v[6:7], v[8:9] offset0:2 offset1:3
	ds_write2_b64 v1, v[10:11], v[12:13] offset0:4 offset1:5
	;; [unrolled: 1-line block ×6, first 2 shown]
	ds_write_b64 v1, v[30:31] offset:112
	v_mul_i32_i24_e32 v1, 0xffffff90, v0
	v_mad_u32_u24 v1, v0, s4, v1
	v_mov_b32_e32 v63, 0
	s_waitcnt lgkmcnt(0)
	s_barrier
	ds_read2st64_b64 v[32:35], v1 offset1:4
	ds_read2st64_b64 v[36:39], v1 offset0:8 offset1:12
	ds_read2st64_b64 v[40:43], v1 offset0:16 offset1:20
	;; [unrolled: 1-line block ×6, first 2 shown]
	ds_read_b64 v[60:61], v1 offset:28672
	v_lshl_add_u64 v[64:65], s[2:3], 0, v[62:63]
	s_movk_i32 s4, 0x1000
	s_waitcnt lgkmcnt(7)
	global_store_dwordx2 v62, v[32:33], s[2:3]
	global_store_dwordx2 v62, v[34:35], s[2:3] offset:2048
	v_add_co_u32_e32 v32, vcc, s4, v64
	s_movk_i32 s4, 0x2000
	s_nop 0
	v_addc_co_u32_e32 v33, vcc, 0, v65, vcc
	v_add_co_u32_e32 v34, vcc, s4, v64
	s_movk_i32 s4, 0x3000
	s_nop 0
	v_addc_co_u32_e32 v35, vcc, 0, v65, vcc
	s_waitcnt lgkmcnt(6)
	global_store_dwordx2 v[34:35], v[36:37], off offset:-4096
	global_store_dwordx2 v[32:33], v[38:39], off offset:2048
	s_waitcnt lgkmcnt(5)
	global_store_dwordx2 v[34:35], v[40:41], off
	global_store_dwordx2 v[34:35], v[42:43], off offset:2048
	v_add_co_u32_e32 v32, vcc, s4, v64
	s_movk_i32 s4, 0x4000
	s_nop 0
	v_addc_co_u32_e32 v33, vcc, 0, v65, vcc
	v_add_co_u32_e32 v34, vcc, s4, v64
	s_movk_i32 s4, 0x5000
	s_nop 0
	v_addc_co_u32_e32 v35, vcc, 0, v65, vcc
	s_waitcnt lgkmcnt(4)
	global_store_dwordx2 v[34:35], v[44:45], off offset:-4096
	global_store_dwordx2 v[32:33], v[46:47], off offset:2048
	s_waitcnt lgkmcnt(3)
	global_store_dwordx2 v[34:35], v[48:49], off
	global_store_dwordx2 v[34:35], v[50:51], off offset:2048
	v_add_co_u32_e32 v32, vcc, s4, v64
	s_mov_b64 s[4:5], 0
	s_nop 0
	v_addc_co_u32_e32 v33, vcc, 0, v65, vcc
	s_waitcnt lgkmcnt(2)
	global_store_dwordx2 v[32:33], v[52:53], off
	global_store_dwordx2 v[32:33], v[54:55], off offset:2048
	v_add_co_u32_e32 v32, vcc, 0x6000, v64
	s_nop 1
	v_addc_co_u32_e32 v33, vcc, 0, v65, vcc
	s_waitcnt lgkmcnt(1)
	global_store_dwordx2 v[32:33], v[56:57], off
	global_store_dwordx2 v[32:33], v[58:59], off offset:2048
	v_add_co_u32_e32 v32, vcc, 0x7000, v64
	s_nop 1
	v_addc_co_u32_e32 v33, vcc, 0, v65, vcc
	s_waitcnt lgkmcnt(0)
	global_store_dwordx2 v[32:33], v[60:61], off
.LBB9_71:
	s_andn2_b64 vcc, exec, s[4:5]
	s_cbranch_vccnz .LBB9_157
; %bb.72:
	v_mul_u32_u24_e32 v1, 0x78, v0
	s_movk_i32 s4, 0x78
	ds_write2_b64 v1, v[2:3], v[4:5] offset1:1
	ds_write2_b64 v1, v[6:7], v[8:9] offset0:2 offset1:3
	ds_write2_b64 v1, v[10:11], v[12:13] offset0:4 offset1:5
	;; [unrolled: 1-line block ×6, first 2 shown]
	ds_write_b64 v1, v[30:31] offset:112
	v_mul_i32_i24_e32 v1, 0xffffff90, v0
	v_mad_u32_u24 v1, v0, s4, v1
	s_waitcnt lgkmcnt(0)
	s_barrier
	ds_read2st64_b64 v[6:9], v1 offset1:4
	ds_read2st64_b64 v[14:17], v1 offset0:8 offset1:12
	ds_read2st64_b64 v[10:13], v1 offset0:16 offset1:20
	;; [unrolled: 1-line block ×6, first 2 shown]
	ds_read_b64 v[30:31], v1 offset:28672
	v_mov_b32_e32 v63, 0
	v_lshl_add_u64 v[32:33], s[2:3], 0, v[62:63]
	v_cmp_gt_u32_e32 vcc, s24, v0
	s_and_saveexec_b64 s[2:3], vcc
	s_cbranch_execz .LBB9_74
; %bb.73:
	s_waitcnt lgkmcnt(7)
	global_store_dwordx2 v[32:33], v[6:7], off
.LBB9_74:
	s_or_b64 exec, exec, s[2:3]
	v_or_b32_e32 v1, 0x100, v0
	v_cmp_gt_u32_e32 vcc, s24, v1
	s_and_saveexec_b64 s[2:3], vcc
	s_cbranch_execz .LBB9_76
; %bb.75:
	s_waitcnt lgkmcnt(7)
	global_store_dwordx2 v[32:33], v[8:9], off offset:2048
.LBB9_76:
	s_or_b64 exec, exec, s[2:3]
	v_or_b32_e32 v1, 0x200, v0
	v_cmp_gt_u32_e32 vcc, s24, v1
	s_and_saveexec_b64 s[2:3], vcc
	s_cbranch_execz .LBB9_78
; %bb.77:
	v_add_co_u32_e32 v34, vcc, 0x1000, v32
	s_nop 1
	v_addc_co_u32_e32 v35, vcc, 0, v33, vcc
	s_waitcnt lgkmcnt(6)
	global_store_dwordx2 v[34:35], v[14:15], off
.LBB9_78:
	s_or_b64 exec, exec, s[2:3]
	v_or_b32_e32 v1, 0x300, v0
	v_cmp_gt_u32_e32 vcc, s24, v1
	s_and_saveexec_b64 s[2:3], vcc
	s_cbranch_execz .LBB9_80
; %bb.79:
	v_add_co_u32_e32 v34, vcc, 0x1000, v32
	s_nop 1
	v_addc_co_u32_e32 v35, vcc, 0, v33, vcc
	s_waitcnt lgkmcnt(6)
	global_store_dwordx2 v[34:35], v[16:17], off offset:2048
.LBB9_80:
	s_or_b64 exec, exec, s[2:3]
	v_or_b32_e32 v1, 0x400, v0
	v_cmp_gt_u32_e32 vcc, s24, v1
	s_and_saveexec_b64 s[2:3], vcc
	s_cbranch_execz .LBB9_82
; %bb.81:
	v_add_co_u32_e32 v34, vcc, 0x2000, v32
	s_nop 1
	v_addc_co_u32_e32 v35, vcc, 0, v33, vcc
	s_waitcnt lgkmcnt(5)
	global_store_dwordx2 v[34:35], v[10:11], off
.LBB9_82:
	s_or_b64 exec, exec, s[2:3]
	v_or_b32_e32 v1, 0x500, v0
	v_cmp_gt_u32_e32 vcc, s24, v1
	s_and_saveexec_b64 s[2:3], vcc
	s_cbranch_execz .LBB9_84
; %bb.83:
	v_add_co_u32_e32 v34, vcc, 0x2000, v32
	s_nop 1
	v_addc_co_u32_e32 v35, vcc, 0, v33, vcc
	s_waitcnt lgkmcnt(5)
	global_store_dwordx2 v[34:35], v[12:13], off offset:2048
.LBB9_84:
	;; [unrolled: 24-line block ×6, first 2 shown]
	s_or_b64 exec, exec, s[2:3]
	v_or_b32_e32 v1, 0xe00, v0
	v_cmp_gt_u32_e32 vcc, s24, v1
	s_and_saveexec_b64 s[2:3], vcc
	s_cbranch_execz .LBB9_102
; %bb.101:
	v_add_co_u32_e32 v32, vcc, 0x7000, v32
	s_nop 1
	v_addc_co_u32_e32 v33, vcc, 0, v33, vcc
	s_waitcnt lgkmcnt(0)
	global_store_dwordx2 v[32:33], v[30:31], off
.LBB9_102:
	s_or_b64 exec, exec, s[2:3]
	s_load_dword s0, s[0:1], 0x48
	s_waitcnt lgkmcnt(0)
	s_bfe_u32 s0, s0, 0x10008
	s_cmp_eq_u32 s0, 0
	s_cbranch_scc1 .LBB9_157
; %bb.103:
	s_add_u32 s0, s24, -1
	s_addc_u32 s1, s25, -1
	s_add_u32 s2, 0, 0x11108400
	s_addc_u32 s3, 0, 49
	s_add_i32 s3, s3, 0x111110e0
	s_mul_hi_u32 s9, s2, -15
	s_sub_i32 s9, s9, s2
	s_mul_i32 s10, s3, -15
	s_mul_i32 s4, s2, -15
	s_add_i32 s9, s9, s10
	s_mul_hi_u32 s5, s3, s4
	s_mul_i32 s8, s3, s4
	s_mul_i32 s11, s2, s9
	s_mul_hi_u32 s4, s2, s4
	s_mul_hi_u32 s10, s2, s9
	s_add_u32 s4, s4, s11
	s_addc_u32 s10, 0, s10
	s_add_u32 s4, s4, s8
	s_mul_hi_u32 s11, s3, s9
	s_addc_u32 s4, s10, s5
	s_addc_u32 s5, s11, 0
	s_mul_i32 s8, s3, s9
	s_add_u32 s4, s4, s8
	v_mov_b32_e32 v32, s4
	s_addc_u32 s5, 0, s5
	v_add_co_u32_e32 v32, vcc, s2, v32
	s_cmp_lg_u64 vcc, 0
	s_addc_u32 s2, s3, s5
	v_readfirstlane_b32 s5, v32
	s_mul_i32 s4, s0, s2
	s_mul_hi_u32 s8, s0, s5
	s_mul_hi_u32 s3, s0, s2
	s_add_u32 s4, s8, s4
	s_addc_u32 s3, 0, s3
	s_mul_hi_u32 s9, s1, s5
	s_mul_i32 s5, s1, s5
	s_add_u32 s4, s4, s5
	s_mul_hi_u32 s8, s1, s2
	s_addc_u32 s3, s3, s9
	s_addc_u32 s4, s8, 0
	s_mul_i32 s2, s1, s2
	s_add_u32 s2, s3, s2
	s_addc_u32 s3, 0, s4
	s_add_u32 s4, s2, 1
	s_addc_u32 s5, s3, 0
	s_add_u32 s8, s2, 2
	s_mul_i32 s10, s3, 15
	s_mul_hi_u32 s11, s2, 15
	s_addc_u32 s9, s3, 0
	s_add_i32 s11, s11, s10
	s_mul_i32 s10, s2, 15
	v_mov_b32_e32 v32, s10
	v_sub_co_u32_e32 v32, vcc, s0, v32
	s_cmp_lg_u64 vcc, 0
	s_subb_u32 s10, s1, s11
	v_subrev_co_u32_e32 v33, vcc, 15, v32
	s_cmp_lg_u64 vcc, 0
	s_subb_u32 s11, s10, 0
	v_readfirstlane_b32 s12, v33
	s_cmp_gt_u32 s12, 14
	s_cselect_b32 s12, -1, 0
	s_cmp_eq_u32 s11, 0
	s_cselect_b32 s11, s12, -1
	s_cmp_lg_u32 s11, 0
	s_cselect_b32 s4, s8, s4
	v_readfirstlane_b32 s8, v32
	s_cselect_b32 s5, s9, s5
	s_cmp_gt_u32 s8, 14
	s_cselect_b32 s8, -1, 0
	s_cmp_eq_u32 s10, 0
	s_cselect_b32 s8, s8, -1
	s_cmp_lg_u32 s8, 0
	v_mov_b32_e32 v1, v63
	s_cselect_b32 s3, s5, s3
	s_cselect_b32 s2, s4, s2
	v_cmp_eq_u64_e32 vcc, s[2:3], v[0:1]
	s_and_saveexec_b64 s[2:3], vcc
	s_cbranch_execz .LBB9_157
; %bb.104:
	v_mul_hi_u32_u24_e32 v1, 15, v0
	v_mov_b32_e32 v32, s1
	v_sub_co_u32_e32 v0, vcc, s0, v66
	s_nop 1
	v_subb_co_u32_e32 v1, vcc, v32, v1, vcc
	v_cmp_lt_i64_e32 vcc, 7, v[0:1]
	s_and_saveexec_b64 s[0:1], vcc
	s_xor_b64 s[0:1], exec, s[0:1]
	s_cbranch_execz .LBB9_130
; %bb.105:
	v_cmp_lt_i64_e32 vcc, 10, v[0:1]
	s_and_saveexec_b64 s[2:3], vcc
	s_xor_b64 s[2:3], exec, s[2:3]
	s_cbranch_execz .LBB9_119
; %bb.106:
	;; [unrolled: 5-line block ×4, first 2 shown]
	v_mov_b32_e32 v0, 0
	global_store_dwordx2 v0, v[30:31], s[6:7]
                                        ; implicit-def: $vgpr22_vgpr23_vgpr24_vgpr25
.LBB9_109:
	s_andn2_saveexec_b64 s[8:9], s[8:9]
	s_cbranch_execz .LBB9_111
; %bb.110:
	v_mov_b32_e32 v0, 0
	global_store_dwordx2 v0, v[24:25], s[6:7]
.LBB9_111:
	s_or_b64 exec, exec, s[8:9]
                                        ; implicit-def: $vgpr2_vgpr3_vgpr4_vgpr5
                                        ; implicit-def: $vgpr0_vgpr1
                                        ; implicit-def: $vgpr22_vgpr23_vgpr24_vgpr25
.LBB9_112:
	s_andn2_saveexec_b64 s[4:5], s[4:5]
	s_cbranch_execz .LBB9_118
; %bb.113:
	v_cmp_lt_i64_e32 vcc, 11, v[0:1]
	s_and_saveexec_b64 s[8:9], vcc
	s_xor_b64 s[8:9], exec, s[8:9]
	s_cbranch_execz .LBB9_115
; %bb.114:
	v_mov_b32_e32 v0, 0
	global_store_dwordx2 v0, v[22:23], s[6:7]
                                        ; implicit-def: $vgpr2_vgpr3_vgpr4_vgpr5
.LBB9_115:
	s_andn2_saveexec_b64 s[8:9], s[8:9]
	s_cbranch_execz .LBB9_117
; %bb.116:
	v_mov_b32_e32 v0, 0
	global_store_dwordx2 v0, v[4:5], s[6:7]
.LBB9_117:
	s_or_b64 exec, exec, s[8:9]
.LBB9_118:
	s_or_b64 exec, exec, s[4:5]
                                        ; implicit-def: $vgpr18_vgpr19_vgpr20_vgpr21
                                        ; implicit-def: $vgpr0_vgpr1
                                        ; implicit-def: $vgpr2_vgpr3_vgpr4_vgpr5
.LBB9_119:
	s_andn2_saveexec_b64 s[2:3], s[2:3]
	s_cbranch_execz .LBB9_129
; %bb.120:
	v_cmp_lt_i64_e32 vcc, 8, v[0:1]
	s_and_saveexec_b64 s[4:5], vcc
	s_xor_b64 s[4:5], exec, s[4:5]
	s_cbranch_execz .LBB9_126
; %bb.121:
	v_cmp_lt_i64_e32 vcc, 9, v[0:1]
	s_and_saveexec_b64 s[8:9], vcc
	s_xor_b64 s[8:9], exec, s[8:9]
	s_cbranch_execz .LBB9_123
; %bb.122:
	v_mov_b32_e32 v0, 0
	global_store_dwordx2 v0, v[2:3], s[6:7]
                                        ; implicit-def: $vgpr18_vgpr19_vgpr20_vgpr21
.LBB9_123:
	s_andn2_saveexec_b64 s[8:9], s[8:9]
	s_cbranch_execz .LBB9_125
; %bb.124:
	v_mov_b32_e32 v0, 0
	global_store_dwordx2 v0, v[20:21], s[6:7]
.LBB9_125:
	s_or_b64 exec, exec, s[8:9]
                                        ; implicit-def: $vgpr18_vgpr19_vgpr20_vgpr21
.LBB9_126:
	s_andn2_saveexec_b64 s[4:5], s[4:5]
	s_cbranch_execz .LBB9_128
; %bb.127:
	v_mov_b32_e32 v0, 0
	global_store_dwordx2 v0, v[18:19], s[6:7]
.LBB9_128:
	s_or_b64 exec, exec, s[4:5]
.LBB9_129:
	s_or_b64 exec, exec, s[2:3]
                                        ; implicit-def: $vgpr0_vgpr1
                                        ; implicit-def: $vgpr6_vgpr7_vgpr8_vgpr9
                                        ; implicit-def: $vgpr10_vgpr11_vgpr12_vgpr13
                                        ; implicit-def: $vgpr14_vgpr15_vgpr16_vgpr17
                                        ; implicit-def: $vgpr26_vgpr27_vgpr28_vgpr29
.LBB9_130:
	s_andn2_saveexec_b64 s[0:1], s[0:1]
	s_cbranch_execz .LBB9_157
; %bb.131:
	v_cmp_lt_i64_e32 vcc, 3, v[0:1]
	s_and_saveexec_b64 s[0:1], vcc
	s_xor_b64 s[0:1], exec, s[0:1]
	s_cbranch_execz .LBB9_145
; %bb.132:
	v_cmp_lt_i64_e32 vcc, 5, v[0:1]
	s_and_saveexec_b64 s[2:3], vcc
	s_xor_b64 s[2:3], exec, s[2:3]
	;; [unrolled: 5-line block ×3, first 2 shown]
	s_cbranch_execz .LBB9_135
; %bb.134:
	v_mov_b32_e32 v0, 0
	global_store_dwordx2 v0, v[28:29], s[6:7]
                                        ; implicit-def: $vgpr26_vgpr27_vgpr28_vgpr29
.LBB9_135:
	s_andn2_saveexec_b64 s[4:5], s[4:5]
	s_cbranch_execz .LBB9_137
; %bb.136:
	v_mov_b32_e32 v0, 0
	global_store_dwordx2 v0, v[26:27], s[6:7]
.LBB9_137:
	s_or_b64 exec, exec, s[4:5]
                                        ; implicit-def: $vgpr10_vgpr11_vgpr12_vgpr13
                                        ; implicit-def: $vgpr0_vgpr1
.LBB9_138:
	s_andn2_saveexec_b64 s[2:3], s[2:3]
	s_cbranch_execz .LBB9_144
; %bb.139:
	v_cmp_lt_i64_e32 vcc, 4, v[0:1]
	s_and_saveexec_b64 s[4:5], vcc
	s_xor_b64 s[4:5], exec, s[4:5]
	s_cbranch_execz .LBB9_141
; %bb.140:
	v_mov_b32_e32 v0, 0
	global_store_dwordx2 v0, v[12:13], s[6:7]
                                        ; implicit-def: $vgpr10_vgpr11_vgpr12_vgpr13
.LBB9_141:
	s_andn2_saveexec_b64 s[4:5], s[4:5]
	s_cbranch_execz .LBB9_143
; %bb.142:
	v_mov_b32_e32 v0, 0
	global_store_dwordx2 v0, v[10:11], s[6:7]
.LBB9_143:
	s_or_b64 exec, exec, s[4:5]
.LBB9_144:
	s_or_b64 exec, exec, s[2:3]
                                        ; implicit-def: $vgpr0_vgpr1
                                        ; implicit-def: $vgpr6_vgpr7_vgpr8_vgpr9
                                        ; implicit-def: $vgpr14_vgpr15_vgpr16_vgpr17
.LBB9_145:
	s_andn2_saveexec_b64 s[0:1], s[0:1]
	s_cbranch_execz .LBB9_157
; %bb.146:
	v_cmp_lt_i64_e32 vcc, 1, v[0:1]
	s_and_saveexec_b64 s[0:1], vcc
	s_xor_b64 s[0:1], exec, s[0:1]
	s_cbranch_execz .LBB9_152
; %bb.147:
	v_cmp_lt_i64_e32 vcc, 2, v[0:1]
	s_and_saveexec_b64 s[2:3], vcc
	s_xor_b64 s[2:3], exec, s[2:3]
	s_cbranch_execz .LBB9_149
; %bb.148:
	v_mov_b32_e32 v0, 0
	global_store_dwordx2 v0, v[16:17], s[6:7]
                                        ; implicit-def: $vgpr14_vgpr15_vgpr16_vgpr17
.LBB9_149:
	s_andn2_saveexec_b64 s[2:3], s[2:3]
	s_cbranch_execz .LBB9_151
; %bb.150:
	v_mov_b32_e32 v0, 0
	global_store_dwordx2 v0, v[14:15], s[6:7]
.LBB9_151:
	s_or_b64 exec, exec, s[2:3]
                                        ; implicit-def: $vgpr6_vgpr7_vgpr8_vgpr9
                                        ; implicit-def: $vgpr0_vgpr1
.LBB9_152:
	s_andn2_saveexec_b64 s[0:1], s[0:1]
	s_cbranch_execz .LBB9_157
; %bb.153:
	v_cmp_ne_u64_e32 vcc, 1, v[0:1]
	s_and_saveexec_b64 s[0:1], vcc
	s_xor_b64 s[0:1], exec, s[0:1]
	s_cbranch_execz .LBB9_155
; %bb.154:
	v_mov_b32_e32 v0, 0
	global_store_dwordx2 v0, v[6:7], s[6:7]
                                        ; implicit-def: $vgpr6_vgpr7_vgpr8_vgpr9
.LBB9_155:
	s_andn2_saveexec_b64 s[0:1], s[0:1]
	s_cbranch_execz .LBB9_157
; %bb.156:
	v_mov_b32_e32 v0, 0
	global_store_dwordx2 v0, v[8:9], s[6:7]
.LBB9_157:
	s_endpgm
	.section	.rodata,"a",@progbits
	.p2align	6, 0x0
	.amdhsa_kernel _ZN7rocprim17ROCPRIM_304000_NS6detail20lookback_scan_kernelILNS1_25lookback_scan_determinismE0ELb0ENS1_19wrapped_scan_configINS0_14default_configElEEPKlPlSt4plusIvEllNS1_19lookback_scan_stateIlLb0ELb1EEEEEvT2_T3_mT5_T4_T7_jPT6_SK_bb
		.amdhsa_group_segment_fixed_size 30720
		.amdhsa_private_segment_fixed_size 0
		.amdhsa_kernarg_size 76
		.amdhsa_user_sgpr_count 2
		.amdhsa_user_sgpr_dispatch_ptr 0
		.amdhsa_user_sgpr_queue_ptr 0
		.amdhsa_user_sgpr_kernarg_segment_ptr 1
		.amdhsa_user_sgpr_dispatch_id 0
		.amdhsa_user_sgpr_kernarg_preload_length 0
		.amdhsa_user_sgpr_kernarg_preload_offset 0
		.amdhsa_user_sgpr_private_segment_size 0
		.amdhsa_uses_dynamic_stack 0
		.amdhsa_enable_private_segment 0
		.amdhsa_system_sgpr_workgroup_id_x 1
		.amdhsa_system_sgpr_workgroup_id_y 0
		.amdhsa_system_sgpr_workgroup_id_z 0
		.amdhsa_system_sgpr_workgroup_info 0
		.amdhsa_system_vgpr_workitem_id 0
		.amdhsa_next_free_vgpr 70
		.amdhsa_next_free_sgpr 68
		.amdhsa_accum_offset 72
		.amdhsa_reserve_vcc 1
		.amdhsa_float_round_mode_32 0
		.amdhsa_float_round_mode_16_64 0
		.amdhsa_float_denorm_mode_32 3
		.amdhsa_float_denorm_mode_16_64 3
		.amdhsa_dx10_clamp 1
		.amdhsa_ieee_mode 1
		.amdhsa_fp16_overflow 0
		.amdhsa_tg_split 0
		.amdhsa_exception_fp_ieee_invalid_op 0
		.amdhsa_exception_fp_denorm_src 0
		.amdhsa_exception_fp_ieee_div_zero 0
		.amdhsa_exception_fp_ieee_overflow 0
		.amdhsa_exception_fp_ieee_underflow 0
		.amdhsa_exception_fp_ieee_inexact 0
		.amdhsa_exception_int_div_zero 0
	.end_amdhsa_kernel
	.section	.text._ZN7rocprim17ROCPRIM_304000_NS6detail20lookback_scan_kernelILNS1_25lookback_scan_determinismE0ELb0ENS1_19wrapped_scan_configINS0_14default_configElEEPKlPlSt4plusIvEllNS1_19lookback_scan_stateIlLb0ELb1EEEEEvT2_T3_mT5_T4_T7_jPT6_SK_bb,"axG",@progbits,_ZN7rocprim17ROCPRIM_304000_NS6detail20lookback_scan_kernelILNS1_25lookback_scan_determinismE0ELb0ENS1_19wrapped_scan_configINS0_14default_configElEEPKlPlSt4plusIvEllNS1_19lookback_scan_stateIlLb0ELb1EEEEEvT2_T3_mT5_T4_T7_jPT6_SK_bb,comdat
.Lfunc_end9:
	.size	_ZN7rocprim17ROCPRIM_304000_NS6detail20lookback_scan_kernelILNS1_25lookback_scan_determinismE0ELb0ENS1_19wrapped_scan_configINS0_14default_configElEEPKlPlSt4plusIvEllNS1_19lookback_scan_stateIlLb0ELb1EEEEEvT2_T3_mT5_T4_T7_jPT6_SK_bb, .Lfunc_end9-_ZN7rocprim17ROCPRIM_304000_NS6detail20lookback_scan_kernelILNS1_25lookback_scan_determinismE0ELb0ENS1_19wrapped_scan_configINS0_14default_configElEEPKlPlSt4plusIvEllNS1_19lookback_scan_stateIlLb0ELb1EEEEEvT2_T3_mT5_T4_T7_jPT6_SK_bb
                                        ; -- End function
	.section	.AMDGPU.csdata,"",@progbits
; Kernel info:
; codeLenInByte = 7500
; NumSgprs: 74
; NumVgprs: 70
; NumAgprs: 0
; TotalNumVgprs: 70
; ScratchSize: 0
; MemoryBound: 1
; FloatMode: 240
; IeeeMode: 1
; LDSByteSize: 30720 bytes/workgroup (compile time only)
; SGPRBlocks: 9
; VGPRBlocks: 8
; NumSGPRsForWavesPerEU: 74
; NumVGPRsForWavesPerEU: 70
; AccumOffset: 72
; Occupancy: 2
; WaveLimiterHint : 1
; COMPUTE_PGM_RSRC2:SCRATCH_EN: 0
; COMPUTE_PGM_RSRC2:USER_SGPR: 2
; COMPUTE_PGM_RSRC2:TRAP_HANDLER: 0
; COMPUTE_PGM_RSRC2:TGID_X_EN: 1
; COMPUTE_PGM_RSRC2:TGID_Y_EN: 0
; COMPUTE_PGM_RSRC2:TGID_Z_EN: 0
; COMPUTE_PGM_RSRC2:TIDIG_COMP_CNT: 0
; COMPUTE_PGM_RSRC3_GFX90A:ACCUM_OFFSET: 17
; COMPUTE_PGM_RSRC3_GFX90A:TG_SPLIT: 0
	.section	.text._ZN7rocprim17ROCPRIM_304000_NS6detail16transform_kernelINS1_24wrapped_transform_configINS0_14default_configElEElPlS6_NS0_8identityIlEEEEvT1_mT2_T3_,"axG",@progbits,_ZN7rocprim17ROCPRIM_304000_NS6detail16transform_kernelINS1_24wrapped_transform_configINS0_14default_configElEElPlS6_NS0_8identityIlEEEEvT1_mT2_T3_,comdat
	.protected	_ZN7rocprim17ROCPRIM_304000_NS6detail16transform_kernelINS1_24wrapped_transform_configINS0_14default_configElEElPlS6_NS0_8identityIlEEEEvT1_mT2_T3_ ; -- Begin function _ZN7rocprim17ROCPRIM_304000_NS6detail16transform_kernelINS1_24wrapped_transform_configINS0_14default_configElEElPlS6_NS0_8identityIlEEEEvT1_mT2_T3_
	.globl	_ZN7rocprim17ROCPRIM_304000_NS6detail16transform_kernelINS1_24wrapped_transform_configINS0_14default_configElEElPlS6_NS0_8identityIlEEEEvT1_mT2_T3_
	.p2align	8
	.type	_ZN7rocprim17ROCPRIM_304000_NS6detail16transform_kernelINS1_24wrapped_transform_configINS0_14default_configElEElPlS6_NS0_8identityIlEEEEvT1_mT2_T3_,@function
_ZN7rocprim17ROCPRIM_304000_NS6detail16transform_kernelINS1_24wrapped_transform_configINS0_14default_configElEElPlS6_NS0_8identityIlEEEEvT1_mT2_T3_: ; @_ZN7rocprim17ROCPRIM_304000_NS6detail16transform_kernelINS1_24wrapped_transform_configINS0_14default_configElEElPlS6_NS0_8identityIlEEEEvT1_mT2_T3_
; %bb.0:
	s_load_dword s3, s[0:1], 0x20
	s_load_dwordx4 s[4:7], s[0:1], 0x0
	s_load_dwordx2 s[8:9], s[0:1], 0x10
	s_lshl_b32 s0, s2, 9
	s_mov_b32 s1, 0
	s_waitcnt lgkmcnt(0)
	s_add_i32 s3, s3, -1
	s_lshl_b64 s[10:11], s[0:1], 3
	s_add_u32 s4, s4, s10
	s_addc_u32 s5, s5, s11
	v_mov_b32_e32 v7, 0
	v_lshlrev_b32_e32 v6, 3, v0
	s_cmp_lg_u32 s2, s3
	v_lshl_add_u64 v[8:9], s[4:5], 0, v[6:7]
	s_cbranch_scc0 .LBB10_2
; %bb.1:
	global_load_dwordx2 v[2:3], v[8:9], off
	global_load_dwordx2 v[4:5], v[8:9], off offset:2048
	s_add_u32 s2, s8, s10
	s_addc_u32 s3, s9, s11
	s_waitcnt vmcnt(1)
	global_store_dwordx2 v6, v[2:3], s[2:3]
	s_mov_b64 s[2:3], -1
	s_cbranch_execz .LBB10_3
	s_branch .LBB10_10
.LBB10_2:
	s_mov_b64 s[2:3], 0
                                        ; implicit-def: $vgpr4_vgpr5
.LBB10_3:
	s_sub_i32 s4, s6, s0
	v_cmp_gt_u32_e32 vcc, s4, v0
                                        ; implicit-def: $vgpr2_vgpr3_vgpr4_vgpr5
	s_and_saveexec_b64 s[0:1], vcc
	s_cbranch_execz .LBB10_5
; %bb.4:
	global_load_dwordx2 v[2:3], v[8:9], off
.LBB10_5:
	s_or_b64 exec, exec, s[0:1]
	v_or_b32_e32 v0, 0x100, v0
	v_cmp_gt_u32_e64 s[0:1], s4, v0
	s_and_saveexec_b64 s[4:5], s[0:1]
	s_cbranch_execnz .LBB10_13
; %bb.6:
	s_or_b64 exec, exec, s[4:5]
	s_and_saveexec_b64 s[4:5], vcc
	s_cbranch_execnz .LBB10_14
.LBB10_7:
	s_or_b64 exec, exec, s[4:5]
	s_and_saveexec_b64 s[4:5], s[0:1]
.LBB10_8:
	s_or_b64 s[2:3], s[2:3], exec
.LBB10_9:
	s_or_b64 exec, exec, s[4:5]
.LBB10_10:
	s_and_saveexec_b64 s[0:1], s[2:3]
	s_cbranch_execnz .LBB10_12
; %bb.11:
	s_endpgm
.LBB10_12:
	s_add_u32 s0, s8, s10
	s_addc_u32 s1, s9, s11
	s_waitcnt vmcnt(0)
	global_store_dwordx2 v6, v[4:5], s[0:1] offset:2048
	s_endpgm
.LBB10_13:
	global_load_dwordx2 v[4:5], v[8:9], off offset:2048
	s_or_b64 exec, exec, s[4:5]
	s_and_saveexec_b64 s[4:5], vcc
	s_cbranch_execz .LBB10_7
.LBB10_14:
	s_add_u32 s6, s8, s10
	s_addc_u32 s7, s9, s11
	s_waitcnt vmcnt(0)
	global_store_dwordx2 v6, v[2:3], s[6:7]
	s_or_b64 exec, exec, s[4:5]
	s_and_saveexec_b64 s[4:5], s[0:1]
	s_cbranch_execnz .LBB10_8
	s_branch .LBB10_9
	.section	.rodata,"a",@progbits
	.p2align	6, 0x0
	.amdhsa_kernel _ZN7rocprim17ROCPRIM_304000_NS6detail16transform_kernelINS1_24wrapped_transform_configINS0_14default_configElEElPlS6_NS0_8identityIlEEEEvT1_mT2_T3_
		.amdhsa_group_segment_fixed_size 0
		.amdhsa_private_segment_fixed_size 0
		.amdhsa_kernarg_size 288
		.amdhsa_user_sgpr_count 2
		.amdhsa_user_sgpr_dispatch_ptr 0
		.amdhsa_user_sgpr_queue_ptr 0
		.amdhsa_user_sgpr_kernarg_segment_ptr 1
		.amdhsa_user_sgpr_dispatch_id 0
		.amdhsa_user_sgpr_kernarg_preload_length 0
		.amdhsa_user_sgpr_kernarg_preload_offset 0
		.amdhsa_user_sgpr_private_segment_size 0
		.amdhsa_uses_dynamic_stack 0
		.amdhsa_enable_private_segment 0
		.amdhsa_system_sgpr_workgroup_id_x 1
		.amdhsa_system_sgpr_workgroup_id_y 0
		.amdhsa_system_sgpr_workgroup_id_z 0
		.amdhsa_system_sgpr_workgroup_info 0
		.amdhsa_system_vgpr_workitem_id 0
		.amdhsa_next_free_vgpr 10
		.amdhsa_next_free_sgpr 12
		.amdhsa_accum_offset 12
		.amdhsa_reserve_vcc 1
		.amdhsa_float_round_mode_32 0
		.amdhsa_float_round_mode_16_64 0
		.amdhsa_float_denorm_mode_32 3
		.amdhsa_float_denorm_mode_16_64 3
		.amdhsa_dx10_clamp 1
		.amdhsa_ieee_mode 1
		.amdhsa_fp16_overflow 0
		.amdhsa_tg_split 0
		.amdhsa_exception_fp_ieee_invalid_op 0
		.amdhsa_exception_fp_denorm_src 0
		.amdhsa_exception_fp_ieee_div_zero 0
		.amdhsa_exception_fp_ieee_overflow 0
		.amdhsa_exception_fp_ieee_underflow 0
		.amdhsa_exception_fp_ieee_inexact 0
		.amdhsa_exception_int_div_zero 0
	.end_amdhsa_kernel
	.section	.text._ZN7rocprim17ROCPRIM_304000_NS6detail16transform_kernelINS1_24wrapped_transform_configINS0_14default_configElEElPlS6_NS0_8identityIlEEEEvT1_mT2_T3_,"axG",@progbits,_ZN7rocprim17ROCPRIM_304000_NS6detail16transform_kernelINS1_24wrapped_transform_configINS0_14default_configElEElPlS6_NS0_8identityIlEEEEvT1_mT2_T3_,comdat
.Lfunc_end10:
	.size	_ZN7rocprim17ROCPRIM_304000_NS6detail16transform_kernelINS1_24wrapped_transform_configINS0_14default_configElEElPlS6_NS0_8identityIlEEEEvT1_mT2_T3_, .Lfunc_end10-_ZN7rocprim17ROCPRIM_304000_NS6detail16transform_kernelINS1_24wrapped_transform_configINS0_14default_configElEElPlS6_NS0_8identityIlEEEEvT1_mT2_T3_
                                        ; -- End function
	.section	.AMDGPU.csdata,"",@progbits
; Kernel info:
; codeLenInByte = 300
; NumSgprs: 18
; NumVgprs: 10
; NumAgprs: 0
; TotalNumVgprs: 10
; ScratchSize: 0
; MemoryBound: 1
; FloatMode: 240
; IeeeMode: 1
; LDSByteSize: 0 bytes/workgroup (compile time only)
; SGPRBlocks: 2
; VGPRBlocks: 1
; NumSGPRsForWavesPerEU: 18
; NumVGPRsForWavesPerEU: 10
; AccumOffset: 12
; Occupancy: 8
; WaveLimiterHint : 1
; COMPUTE_PGM_RSRC2:SCRATCH_EN: 0
; COMPUTE_PGM_RSRC2:USER_SGPR: 2
; COMPUTE_PGM_RSRC2:TRAP_HANDLER: 0
; COMPUTE_PGM_RSRC2:TGID_X_EN: 1
; COMPUTE_PGM_RSRC2:TGID_Y_EN: 0
; COMPUTE_PGM_RSRC2:TGID_Z_EN: 0
; COMPUTE_PGM_RSRC2:TIDIG_COMP_CNT: 0
; COMPUTE_PGM_RSRC3_GFX90A:ACCUM_OFFSET: 2
; COMPUTE_PGM_RSRC3_GFX90A:TG_SPLIT: 0
	.section	.text._ZN7rocprim17ROCPRIM_304000_NS6detail18single_scan_kernelILb0ENS1_19wrapped_scan_configINS0_14default_configElEEPKlPlSt4plusIvEllEEvT1_mT4_T2_T3_,"axG",@progbits,_ZN7rocprim17ROCPRIM_304000_NS6detail18single_scan_kernelILb0ENS1_19wrapped_scan_configINS0_14default_configElEEPKlPlSt4plusIvEllEEvT1_mT4_T2_T3_,comdat
	.protected	_ZN7rocprim17ROCPRIM_304000_NS6detail18single_scan_kernelILb0ENS1_19wrapped_scan_configINS0_14default_configElEEPKlPlSt4plusIvEllEEvT1_mT4_T2_T3_ ; -- Begin function _ZN7rocprim17ROCPRIM_304000_NS6detail18single_scan_kernelILb0ENS1_19wrapped_scan_configINS0_14default_configElEEPKlPlSt4plusIvEllEEvT1_mT4_T2_T3_
	.globl	_ZN7rocprim17ROCPRIM_304000_NS6detail18single_scan_kernelILb0ENS1_19wrapped_scan_configINS0_14default_configElEEPKlPlSt4plusIvEllEEvT1_mT4_T2_T3_
	.p2align	8
	.type	_ZN7rocprim17ROCPRIM_304000_NS6detail18single_scan_kernelILb0ENS1_19wrapped_scan_configINS0_14default_configElEEPKlPlSt4plusIvEllEEvT1_mT4_T2_T3_,@function
_ZN7rocprim17ROCPRIM_304000_NS6detail18single_scan_kernelILb0ENS1_19wrapped_scan_configINS0_14default_configElEEPKlPlSt4plusIvEllEEvT1_mT4_T2_T3_: ; @_ZN7rocprim17ROCPRIM_304000_NS6detail18single_scan_kernelILb0ENS1_19wrapped_scan_configINS0_14default_configElEEPKlPlSt4plusIvEllEEvT1_mT4_T2_T3_
; %bb.0:
	s_load_dwordx4 s[28:31], s[0:1], 0x0
	v_mov_b32_e32 v35, 0
	v_lshlrev_b32_e32 v34, 3, v0
	s_waitcnt lgkmcnt(0)
	s_load_dwordx2 s[36:37], s[28:29], 0x0
	v_lshl_add_u64 v[36:37], s[28:29], 0, v[34:35]
	v_cmp_gt_u32_e64 s[2:3], s30, v0
	s_waitcnt lgkmcnt(0)
	s_mov_b32 s38, s36
	s_mov_b32 s39, s37
	;; [unrolled: 1-line block ×28, first 2 shown]
	v_mov_b64_e32 v[2:3], s[36:37]
	v_mov_b64_e32 v[4:5], s[38:39]
	;; [unrolled: 1-line block ×16, first 2 shown]
	s_and_saveexec_b64 s[4:5], s[2:3]
	s_cbranch_execz .LBB11_2
; %bb.1:
	global_load_dwordx2 v[2:3], v[36:37], off
	v_mov_b32_e32 v4, s36
	v_mov_b32_e32 v5, s37
	;; [unrolled: 1-line block ×28, first 2 shown]
.LBB11_2:
	s_or_b64 exec, exec, s[4:5]
	v_or_b32_e32 v1, 0x100, v0
	v_cmp_gt_u32_e64 s[4:5], s30, v1
	s_and_saveexec_b64 s[6:7], s[4:5]
	s_cbranch_execz .LBB11_4
; %bb.3:
	global_load_dwordx2 v[4:5], v[36:37], off offset:2048
.LBB11_4:
	s_or_b64 exec, exec, s[6:7]
	v_or_b32_e32 v1, 0x200, v0
	v_cmp_gt_u32_e64 s[6:7], s30, v1
	s_and_saveexec_b64 s[8:9], s[6:7]
	s_cbranch_execz .LBB11_6
; %bb.5:
	v_add_co_u32_e32 v6, vcc, 0x1000, v36
	s_nop 1
	v_addc_co_u32_e32 v7, vcc, 0, v37, vcc
	global_load_dwordx2 v[6:7], v[6:7], off
.LBB11_6:
	s_or_b64 exec, exec, s[8:9]
	v_or_b32_e32 v1, 0x300, v0
	v_cmp_gt_u32_e64 s[8:9], s30, v1
	s_and_saveexec_b64 s[10:11], s[8:9]
	s_cbranch_execz .LBB11_8
; %bb.7:
	v_add_co_u32_e32 v8, vcc, 0x1000, v36
	s_nop 1
	v_addc_co_u32_e32 v9, vcc, 0, v37, vcc
	global_load_dwordx2 v[8:9], v[8:9], off offset:2048
.LBB11_8:
	s_or_b64 exec, exec, s[10:11]
	v_or_b32_e32 v1, 0x400, v0
	v_cmp_gt_u32_e64 s[10:11], s30, v1
	s_and_saveexec_b64 s[12:13], s[10:11]
	s_cbranch_execz .LBB11_10
; %bb.9:
	v_add_co_u32_e32 v10, vcc, 0x2000, v36
	s_nop 1
	v_addc_co_u32_e32 v11, vcc, 0, v37, vcc
	global_load_dwordx2 v[10:11], v[10:11], off
.LBB11_10:
	s_or_b64 exec, exec, s[12:13]
	v_or_b32_e32 v1, 0x500, v0
	v_cmp_gt_u32_e64 s[12:13], s30, v1
	s_and_saveexec_b64 s[14:15], s[12:13]
	s_cbranch_execz .LBB11_12
; %bb.11:
	v_add_co_u32_e32 v12, vcc, 0x2000, v36
	s_nop 1
	v_addc_co_u32_e32 v13, vcc, 0, v37, vcc
	global_load_dwordx2 v[12:13], v[12:13], off offset:2048
.LBB11_12:
	;; [unrolled: 22-line block ×6, first 2 shown]
	s_or_b64 exec, exec, s[34:35]
	v_or_b32_e32 v1, 0xe00, v0
	v_cmp_gt_u32_e64 s[30:31], s30, v1
	s_and_saveexec_b64 s[34:35], s[30:31]
	s_cbranch_execz .LBB11_30
; %bb.29:
	v_add_co_u32_e32 v30, vcc, 0x7000, v36
	s_nop 1
	v_addc_co_u32_e32 v31, vcc, 0, v37, vcc
	global_load_dwordx2 v[30:31], v[30:31], off
.LBB11_30:
	s_or_b64 exec, exec, s[34:35]
	s_movk_i32 s33, 0x70
	v_mad_u32_u24 v1, v0, s33, v34
	s_waitcnt vmcnt(0)
	ds_write2st64_b64 v34, v[2:3], v[4:5] offset1:4
	ds_write2st64_b64 v34, v[6:7], v[8:9] offset0:8 offset1:12
	ds_write2st64_b64 v34, v[10:11], v[12:13] offset0:16 offset1:20
	;; [unrolled: 1-line block ×6, first 2 shown]
	ds_write_b64 v34, v[30:31] offset:28672
	s_waitcnt lgkmcnt(0)
	s_barrier
	ds_read2_b64 v[2:5], v1 offset1:1
	ds_read2_b64 v[6:9], v1 offset0:2 offset1:3
	ds_read2_b64 v[10:13], v1 offset0:4 offset1:5
	;; [unrolled: 1-line block ×6, first 2 shown]
	ds_read_b64 v[30:31], v1 offset:112
	s_waitcnt lgkmcnt(7)
	v_lshl_add_u64 v[32:33], v[4:5], 0, v[2:3]
	s_waitcnt lgkmcnt(6)
	v_lshl_add_u64 v[32:33], v[32:33], 0, v[6:7]
	v_lshl_add_u64 v[32:33], v[32:33], 0, v[8:9]
	s_waitcnt lgkmcnt(5)
	v_lshl_add_u64 v[32:33], v[32:33], 0, v[10:11]
	;; [unrolled: 3-line block ×6, first 2 shown]
	v_lshrrev_b32_e32 v1, 2, v0
	v_lshl_add_u64 v[32:33], v[32:33], 0, v[28:29]
	v_and_b32_e32 v1, 56, v1
	s_waitcnt lgkmcnt(0)
	v_lshl_add_u64 v[32:33], v[32:33], 0, v[30:31]
	v_add_u32_e32 v1, v34, v1
	v_cmp_gt_u32_e32 vcc, 64, v0
	s_barrier
	ds_write_b64 v1, v[32:33]
	s_waitcnt lgkmcnt(0)
	s_barrier
	s_and_saveexec_b64 s[34:35], vcc
	s_cbranch_execz .LBB11_32
; %bb.31:
	v_lshlrev_b32_e32 v1, 2, v0
	v_lshrrev_b32_e32 v35, 3, v0
	v_add_lshl_u32 v1, v35, v1, 3
	ds_read2_b64 v[36:39], v1 offset1:1
	ds_read2_b64 v[40:43], v1 offset0:2 offset1:3
	v_mbcnt_lo_u32_b32 v35, -1, 0
	v_mov_b32_e32 v44, 0
	v_mbcnt_hi_u32_b32 v35, -1, v35
	s_waitcnt lgkmcnt(1)
	v_lshl_add_u64 v[46:47], v[38:39], 0, v[36:37]
	s_waitcnt lgkmcnt(0)
	v_lshl_add_u64 v[46:47], v[46:47], 0, v[40:41]
	v_lshl_add_u64 v[46:47], v[46:47], 0, v[42:43]
	v_and_b32_e32 v52, 15, v35
	v_mov_b32_e32 v49, v44
	v_mov_b32_dpp v48, v46 row_shr:1 row_mask:0xf bank_mask:0xf
	v_mov_b32_dpp v45, v47 row_shr:1 row_mask:0xf bank_mask:0xf
	v_lshl_add_u64 v[48:49], v[46:47], 0, v[48:49]
	v_cmp_eq_u32_e32 vcc, 0, v52
	v_lshl_add_u64 v[50:51], v[44:45], 0, v[48:49]
	v_mov_b32_e32 v49, v44
	v_cndmask_b32_e32 v53, v48, v46, vcc
	v_cndmask_b32_e32 v47, v51, v47, vcc
	v_cndmask_b32_e32 v46, v50, v46, vcc
	v_mov_b32_dpp v48, v53 row_shr:2 row_mask:0xf bank_mask:0xf
	v_mov_b32_dpp v45, v47 row_shr:2 row_mask:0xf bank_mask:0xf
	v_lshl_add_u64 v[48:49], v[46:47], 0, v[48:49]
	v_cmp_lt_u32_e32 vcc, 1, v52
	v_lshl_add_u64 v[50:51], v[48:49], 0, v[44:45]
	v_mov_b32_e32 v49, v44
	v_cndmask_b32_e32 v53, v53, v48, vcc
	v_cndmask_b32_e32 v47, v47, v51, vcc
	v_cndmask_b32_e32 v46, v46, v50, vcc
	v_mov_b32_dpp v48, v53 row_shr:4 row_mask:0xf bank_mask:0xf
	v_mov_b32_dpp v45, v47 row_shr:4 row_mask:0xf bank_mask:0xf
	v_lshl_add_u64 v[48:49], v[46:47], 0, v[48:49]
	v_cmp_lt_u32_e32 vcc, 3, v52
	;; [unrolled: 9-line block ×3, first 2 shown]
	v_lshl_add_u64 v[50:51], v[48:49], 0, v[44:45]
	v_mov_b32_e32 v49, v44
	v_cndmask_b32_e32 v52, v53, v48, vcc
	v_cndmask_b32_e32 v47, v47, v51, vcc
	;; [unrolled: 1-line block ×3, first 2 shown]
	v_mov_b32_dpp v48, v52 row_bcast:15 row_mask:0xf bank_mask:0xf
	v_and_b32_e32 v53, 16, v35
	v_mov_b32_dpp v45, v47 row_bcast:15 row_mask:0xf bank_mask:0xf
	v_lshl_add_u64 v[48:49], v[46:47], 0, v[48:49]
	v_cmp_eq_u32_e32 vcc, 0, v53
	v_lshl_add_u64 v[50:51], v[48:49], 0, v[44:45]
	v_mov_b32_e32 v49, v44
	v_cndmask_b32_e32 v45, v48, v52, vcc
	v_cndmask_b32_e32 v47, v51, v47, vcc
	;; [unrolled: 1-line block ×3, first 2 shown]
	v_mov_b32_dpp v48, v45 row_bcast:31 row_mask:0xf bank_mask:0xf
	v_mov_b32_dpp v50, v47 row_bcast:31 row_mask:0xf bank_mask:0xf
	v_lshl_add_u64 v[48:49], v[46:47], 0, v[48:49]
	v_add_u32_e32 v46, v50, v49
	v_cmp_lt_u32_e32 vcc, 31, v35
	s_nop 1
	v_cndmask_b32_e32 v45, v45, v48, vcc
	v_cndmask_b32_e32 v47, v47, v46, vcc
	v_add_u32_e32 v46, -1, v35
	v_and_b32_e32 v48, 64, v35
	v_cmp_lt_i32_e32 vcc, v46, v48
	s_nop 1
	v_cndmask_b32_e32 v35, v46, v35, vcc
	v_lshlrev_b32_e32 v35, 2, v35
	ds_bpermute_b32 v46, v35, v45
	ds_bpermute_b32 v45, v35, v47
	v_mov_b32_e32 v47, v44
	v_cmp_eq_u32_e32 vcc, 0, v0
	s_waitcnt lgkmcnt(1)
	v_lshl_add_u64 v[36:37], v[36:37], 0, v[46:47]
	s_waitcnt lgkmcnt(0)
	v_lshl_add_u64 v[36:37], v[36:37], 0, v[44:45]
	v_cndmask_b32_e32 v33, v37, v33, vcc
	v_cndmask_b32_e32 v32, v36, v32, vcc
	v_lshl_add_u64 v[36:37], v[32:33], 0, v[38:39]
	ds_write2_b64 v1, v[32:33], v[36:37] offset1:1
	v_lshl_add_u64 v[32:33], v[36:37], 0, v[40:41]
	v_lshl_add_u64 v[36:37], v[32:33], 0, v[42:43]
	ds_write2_b64 v1, v[32:33], v[36:37] offset0:2 offset1:3
.LBB11_32:
	s_or_b64 exec, exec, s[34:35]
	v_mul_u32_u24_e32 v1, 0x70, v0
	v_cmp_ne_u32_e32 vcc, 0, v0
	v_mov_b64_e32 v[32:33], 0
	s_waitcnt lgkmcnt(0)
	s_barrier
	s_and_saveexec_b64 s[34:35], vcc
	s_cbranch_execz .LBB11_34
; %bb.33:
	v_add_u32_e32 v0, -1, v0
	v_lshrrev_b32_e32 v32, 5, v0
	v_add_lshl_u32 v0, v32, v0, 3
	ds_read_b64 v[32:33], v0
.LBB11_34:
	s_or_b64 exec, exec, s[34:35]
	s_waitcnt lgkmcnt(0)
	v_lshl_add_u64 v[2:3], v[32:33], 0, v[2:3]
	v_lshl_add_u64 v[4:5], v[2:3], 0, v[4:5]
	;; [unrolled: 1-line block ×14, first 2 shown]
	v_add_u32_e32 v0, v34, v1
	v_lshl_add_u64 v[30:31], v[28:29], 0, v[30:31]
	s_barrier
	ds_write2_b64 v0, v[2:3], v[4:5] offset1:1
	ds_write2_b64 v0, v[6:7], v[8:9] offset0:2 offset1:3
	ds_write2_b64 v0, v[10:11], v[12:13] offset0:4 offset1:5
	;; [unrolled: 1-line block ×6, first 2 shown]
	ds_write_b64 v0, v[30:31] offset:112
	s_waitcnt lgkmcnt(0)
	s_barrier
	ds_read2st64_b64 v[24:27], v34 offset0:4 offset1:8
	ds_read2st64_b64 v[20:23], v34 offset0:12 offset1:16
	;; [unrolled: 1-line block ×7, first 2 shown]
	s_load_dwordx2 s[0:1], s[0:1], 0x18
	v_mov_b32_e32 v35, 0
	s_waitcnt lgkmcnt(0)
	v_lshl_add_u64 v[28:29], s[0:1], 0, v[34:35]
	s_and_saveexec_b64 s[0:1], s[2:3]
	s_cbranch_execnz .LBB11_50
; %bb.35:
	s_or_b64 exec, exec, s[0:1]
	s_and_saveexec_b64 s[0:1], s[4:5]
	s_cbranch_execnz .LBB11_51
.LBB11_36:
	s_or_b64 exec, exec, s[0:1]
	s_and_saveexec_b64 s[0:1], s[6:7]
	s_cbranch_execnz .LBB11_52
.LBB11_37:
	s_or_b64 exec, exec, s[0:1]
	s_and_saveexec_b64 s[0:1], s[8:9]
	s_cbranch_execnz .LBB11_53
.LBB11_38:
	s_or_b64 exec, exec, s[0:1]
	s_and_saveexec_b64 s[0:1], s[10:11]
	s_cbranch_execnz .LBB11_54
.LBB11_39:
	s_or_b64 exec, exec, s[0:1]
	s_and_saveexec_b64 s[0:1], s[12:13]
	s_cbranch_execnz .LBB11_55
.LBB11_40:
	s_or_b64 exec, exec, s[0:1]
	s_and_saveexec_b64 s[0:1], s[14:15]
	s_cbranch_execnz .LBB11_56
.LBB11_41:
	s_or_b64 exec, exec, s[0:1]
	s_and_saveexec_b64 s[0:1], s[16:17]
	s_cbranch_execnz .LBB11_57
.LBB11_42:
	s_or_b64 exec, exec, s[0:1]
	s_and_saveexec_b64 s[0:1], s[18:19]
	s_cbranch_execnz .LBB11_58
.LBB11_43:
	s_or_b64 exec, exec, s[0:1]
	s_and_saveexec_b64 s[0:1], s[20:21]
	s_cbranch_execnz .LBB11_59
.LBB11_44:
	s_or_b64 exec, exec, s[0:1]
	s_and_saveexec_b64 s[0:1], s[22:23]
	s_cbranch_execnz .LBB11_60
.LBB11_45:
	s_or_b64 exec, exec, s[0:1]
	s_and_saveexec_b64 s[0:1], s[24:25]
	s_cbranch_execnz .LBB11_61
.LBB11_46:
	s_or_b64 exec, exec, s[0:1]
	s_and_saveexec_b64 s[0:1], s[26:27]
	s_cbranch_execnz .LBB11_62
.LBB11_47:
	s_or_b64 exec, exec, s[0:1]
	s_and_saveexec_b64 s[0:1], s[28:29]
	s_cbranch_execnz .LBB11_63
.LBB11_48:
	s_or_b64 exec, exec, s[0:1]
	s_and_saveexec_b64 s[0:1], s[30:31]
	s_cbranch_execnz .LBB11_64
.LBB11_49:
	s_endpgm
.LBB11_50:
	ds_read_b64 v[30:31], v34
	s_waitcnt lgkmcnt(0)
	global_store_dwordx2 v[28:29], v[30:31], off
	s_or_b64 exec, exec, s[0:1]
	s_and_saveexec_b64 s[0:1], s[4:5]
	s_cbranch_execz .LBB11_36
.LBB11_51:
	global_store_dwordx2 v[28:29], v[24:25], off offset:2048
	s_or_b64 exec, exec, s[0:1]
	s_and_saveexec_b64 s[0:1], s[6:7]
	s_cbranch_execz .LBB11_37
.LBB11_52:
	v_add_co_u32_e32 v24, vcc, 0x1000, v28
	s_nop 1
	v_addc_co_u32_e32 v25, vcc, 0, v29, vcc
	global_store_dwordx2 v[24:25], v[26:27], off
	s_or_b64 exec, exec, s[0:1]
	s_and_saveexec_b64 s[0:1], s[8:9]
	s_cbranch_execz .LBB11_38
.LBB11_53:
	v_add_co_u32_e32 v24, vcc, 0x1000, v28
	s_nop 1
	v_addc_co_u32_e32 v25, vcc, 0, v29, vcc
	global_store_dwordx2 v[24:25], v[20:21], off offset:2048
	s_or_b64 exec, exec, s[0:1]
	s_and_saveexec_b64 s[0:1], s[10:11]
	s_cbranch_execz .LBB11_39
.LBB11_54:
	v_add_co_u32_e32 v20, vcc, 0x2000, v28
	s_nop 1
	v_addc_co_u32_e32 v21, vcc, 0, v29, vcc
	global_store_dwordx2 v[20:21], v[22:23], off
	s_or_b64 exec, exec, s[0:1]
	s_and_saveexec_b64 s[0:1], s[12:13]
	s_cbranch_execz .LBB11_40
.LBB11_55:
	v_add_co_u32_e32 v20, vcc, 0x2000, v28
	s_nop 1
	v_addc_co_u32_e32 v21, vcc, 0, v29, vcc
	global_store_dwordx2 v[20:21], v[16:17], off offset:2048
	s_or_b64 exec, exec, s[0:1]
	s_and_saveexec_b64 s[0:1], s[14:15]
	s_cbranch_execz .LBB11_41
.LBB11_56:
	v_add_co_u32_e32 v16, vcc, 0x3000, v28
	s_nop 1
	v_addc_co_u32_e32 v17, vcc, 0, v29, vcc
	global_store_dwordx2 v[16:17], v[18:19], off
	s_or_b64 exec, exec, s[0:1]
	s_and_saveexec_b64 s[0:1], s[16:17]
	s_cbranch_execz .LBB11_42
.LBB11_57:
	v_add_co_u32_e32 v16, vcc, 0x3000, v28
	s_nop 1
	v_addc_co_u32_e32 v17, vcc, 0, v29, vcc
	global_store_dwordx2 v[16:17], v[12:13], off offset:2048
	s_or_b64 exec, exec, s[0:1]
	s_and_saveexec_b64 s[0:1], s[18:19]
	s_cbranch_execz .LBB11_43
.LBB11_58:
	v_add_co_u32_e32 v12, vcc, 0x4000, v28
	s_nop 1
	v_addc_co_u32_e32 v13, vcc, 0, v29, vcc
	global_store_dwordx2 v[12:13], v[14:15], off
	s_or_b64 exec, exec, s[0:1]
	s_and_saveexec_b64 s[0:1], s[20:21]
	s_cbranch_execz .LBB11_44
.LBB11_59:
	v_add_co_u32_e32 v12, vcc, 0x4000, v28
	s_nop 1
	v_addc_co_u32_e32 v13, vcc, 0, v29, vcc
	global_store_dwordx2 v[12:13], v[8:9], off offset:2048
	s_or_b64 exec, exec, s[0:1]
	s_and_saveexec_b64 s[0:1], s[22:23]
	s_cbranch_execz .LBB11_45
.LBB11_60:
	v_add_co_u32_e32 v8, vcc, 0x5000, v28
	s_nop 1
	v_addc_co_u32_e32 v9, vcc, 0, v29, vcc
	global_store_dwordx2 v[8:9], v[10:11], off
	s_or_b64 exec, exec, s[0:1]
	s_and_saveexec_b64 s[0:1], s[24:25]
	s_cbranch_execz .LBB11_46
.LBB11_61:
	v_add_co_u32_e32 v8, vcc, 0x5000, v28
	s_nop 1
	v_addc_co_u32_e32 v9, vcc, 0, v29, vcc
	global_store_dwordx2 v[8:9], v[4:5], off offset:2048
	s_or_b64 exec, exec, s[0:1]
	s_and_saveexec_b64 s[0:1], s[26:27]
	s_cbranch_execz .LBB11_47
.LBB11_62:
	v_add_co_u32_e32 v4, vcc, 0x6000, v28
	s_nop 1
	v_addc_co_u32_e32 v5, vcc, 0, v29, vcc
	global_store_dwordx2 v[4:5], v[6:7], off
	s_or_b64 exec, exec, s[0:1]
	s_and_saveexec_b64 s[0:1], s[28:29]
	s_cbranch_execz .LBB11_48
.LBB11_63:
	v_add_co_u32_e32 v4, vcc, 0x6000, v28
	s_nop 1
	v_addc_co_u32_e32 v5, vcc, 0, v29, vcc
	global_store_dwordx2 v[4:5], v[0:1], off offset:2048
	s_or_b64 exec, exec, s[0:1]
	s_and_saveexec_b64 s[0:1], s[30:31]
	s_cbranch_execz .LBB11_49
.LBB11_64:
	v_add_co_u32_e32 v0, vcc, 0x7000, v28
	s_nop 1
	v_addc_co_u32_e32 v1, vcc, 0, v29, vcc
	global_store_dwordx2 v[0:1], v[2:3], off
	s_endpgm
	.section	.rodata,"a",@progbits
	.p2align	6, 0x0
	.amdhsa_kernel _ZN7rocprim17ROCPRIM_304000_NS6detail18single_scan_kernelILb0ENS1_19wrapped_scan_configINS0_14default_configElEEPKlPlSt4plusIvEllEEvT1_mT4_T2_T3_
		.amdhsa_group_segment_fixed_size 30720
		.amdhsa_private_segment_fixed_size 0
		.amdhsa_kernarg_size 36
		.amdhsa_user_sgpr_count 2
		.amdhsa_user_sgpr_dispatch_ptr 0
		.amdhsa_user_sgpr_queue_ptr 0
		.amdhsa_user_sgpr_kernarg_segment_ptr 1
		.amdhsa_user_sgpr_dispatch_id 0
		.amdhsa_user_sgpr_kernarg_preload_length 0
		.amdhsa_user_sgpr_kernarg_preload_offset 0
		.amdhsa_user_sgpr_private_segment_size 0
		.amdhsa_uses_dynamic_stack 0
		.amdhsa_enable_private_segment 0
		.amdhsa_system_sgpr_workgroup_id_x 1
		.amdhsa_system_sgpr_workgroup_id_y 0
		.amdhsa_system_sgpr_workgroup_id_z 0
		.amdhsa_system_sgpr_workgroup_info 0
		.amdhsa_system_vgpr_workitem_id 0
		.amdhsa_next_free_vgpr 54
		.amdhsa_next_free_sgpr 68
		.amdhsa_accum_offset 56
		.amdhsa_reserve_vcc 1
		.amdhsa_float_round_mode_32 0
		.amdhsa_float_round_mode_16_64 0
		.amdhsa_float_denorm_mode_32 3
		.amdhsa_float_denorm_mode_16_64 3
		.amdhsa_dx10_clamp 1
		.amdhsa_ieee_mode 1
		.amdhsa_fp16_overflow 0
		.amdhsa_tg_split 0
		.amdhsa_exception_fp_ieee_invalid_op 0
		.amdhsa_exception_fp_denorm_src 0
		.amdhsa_exception_fp_ieee_div_zero 0
		.amdhsa_exception_fp_ieee_overflow 0
		.amdhsa_exception_fp_ieee_underflow 0
		.amdhsa_exception_fp_ieee_inexact 0
		.amdhsa_exception_int_div_zero 0
	.end_amdhsa_kernel
	.section	.text._ZN7rocprim17ROCPRIM_304000_NS6detail18single_scan_kernelILb0ENS1_19wrapped_scan_configINS0_14default_configElEEPKlPlSt4plusIvEllEEvT1_mT4_T2_T3_,"axG",@progbits,_ZN7rocprim17ROCPRIM_304000_NS6detail18single_scan_kernelILb0ENS1_19wrapped_scan_configINS0_14default_configElEEPKlPlSt4plusIvEllEEvT1_mT4_T2_T3_,comdat
.Lfunc_end11:
	.size	_ZN7rocprim17ROCPRIM_304000_NS6detail18single_scan_kernelILb0ENS1_19wrapped_scan_configINS0_14default_configElEEPKlPlSt4plusIvEllEEvT1_mT4_T2_T3_, .Lfunc_end11-_ZN7rocprim17ROCPRIM_304000_NS6detail18single_scan_kernelILb0ENS1_19wrapped_scan_configINS0_14default_configElEEPKlPlSt4plusIvEllEEvT1_mT4_T2_T3_
                                        ; -- End function
	.section	.AMDGPU.csdata,"",@progbits
; Kernel info:
; codeLenInByte = 2968
; NumSgprs: 74
; NumVgprs: 54
; NumAgprs: 0
; TotalNumVgprs: 54
; ScratchSize: 0
; MemoryBound: 1
; FloatMode: 240
; IeeeMode: 1
; LDSByteSize: 30720 bytes/workgroup (compile time only)
; SGPRBlocks: 9
; VGPRBlocks: 6
; NumSGPRsForWavesPerEU: 74
; NumVGPRsForWavesPerEU: 54
; AccumOffset: 56
; Occupancy: 2
; WaveLimiterHint : 0
; COMPUTE_PGM_RSRC2:SCRATCH_EN: 0
; COMPUTE_PGM_RSRC2:USER_SGPR: 2
; COMPUTE_PGM_RSRC2:TRAP_HANDLER: 0
; COMPUTE_PGM_RSRC2:TGID_X_EN: 1
; COMPUTE_PGM_RSRC2:TGID_Y_EN: 0
; COMPUTE_PGM_RSRC2:TGID_Z_EN: 0
; COMPUTE_PGM_RSRC2:TIDIG_COMP_CNT: 0
; COMPUTE_PGM_RSRC3_GFX90A:ACCUM_OFFSET: 13
; COMPUTE_PGM_RSRC3_GFX90A:TG_SPLIT: 0
	.section	.text._ZN7rocprim17ROCPRIM_304000_NS6detail20lookback_scan_kernelILNS1_25lookback_scan_determinismE0ELb0ENS1_19wrapped_scan_configINS0_14default_configEiEEPKiPlSt4plusIvEiiNS1_19lookback_scan_stateIiLb1ELb1EEEEEvT2_T3_mT5_T4_T7_jPT6_SK_bb,"axG",@progbits,_ZN7rocprim17ROCPRIM_304000_NS6detail20lookback_scan_kernelILNS1_25lookback_scan_determinismE0ELb0ENS1_19wrapped_scan_configINS0_14default_configEiEEPKiPlSt4plusIvEiiNS1_19lookback_scan_stateIiLb1ELb1EEEEEvT2_T3_mT5_T4_T7_jPT6_SK_bb,comdat
	.protected	_ZN7rocprim17ROCPRIM_304000_NS6detail20lookback_scan_kernelILNS1_25lookback_scan_determinismE0ELb0ENS1_19wrapped_scan_configINS0_14default_configEiEEPKiPlSt4plusIvEiiNS1_19lookback_scan_stateIiLb1ELb1EEEEEvT2_T3_mT5_T4_T7_jPT6_SK_bb ; -- Begin function _ZN7rocprim17ROCPRIM_304000_NS6detail20lookback_scan_kernelILNS1_25lookback_scan_determinismE0ELb0ENS1_19wrapped_scan_configINS0_14default_configEiEEPKiPlSt4plusIvEiiNS1_19lookback_scan_stateIiLb1ELb1EEEEEvT2_T3_mT5_T4_T7_jPT6_SK_bb
	.globl	_ZN7rocprim17ROCPRIM_304000_NS6detail20lookback_scan_kernelILNS1_25lookback_scan_determinismE0ELb0ENS1_19wrapped_scan_configINS0_14default_configEiEEPKiPlSt4plusIvEiiNS1_19lookback_scan_stateIiLb1ELb1EEEEEvT2_T3_mT5_T4_T7_jPT6_SK_bb
	.p2align	8
	.type	_ZN7rocprim17ROCPRIM_304000_NS6detail20lookback_scan_kernelILNS1_25lookback_scan_determinismE0ELb0ENS1_19wrapped_scan_configINS0_14default_configEiEEPKiPlSt4plusIvEiiNS1_19lookback_scan_stateIiLb1ELb1EEEEEvT2_T3_mT5_T4_T7_jPT6_SK_bb,@function
_ZN7rocprim17ROCPRIM_304000_NS6detail20lookback_scan_kernelILNS1_25lookback_scan_determinismE0ELb0ENS1_19wrapped_scan_configINS0_14default_configEiEEPKiPlSt4plusIvEiiNS1_19lookback_scan_stateIiLb1ELb1EEEEEvT2_T3_mT5_T4_T7_jPT6_SK_bb: ; @_ZN7rocprim17ROCPRIM_304000_NS6detail20lookback_scan_kernelILNS1_25lookback_scan_determinismE0ELb0ENS1_19wrapped_scan_configINS0_14default_configEiEEPKiPlSt4plusIvEiiNS1_19lookback_scan_stateIiLb1ELb1EEEEEvT2_T3_mT5_T4_T7_jPT6_SK_bb
; %bb.0:
	s_endpgm
	.section	.rodata,"a",@progbits
	.p2align	6, 0x0
	.amdhsa_kernel _ZN7rocprim17ROCPRIM_304000_NS6detail20lookback_scan_kernelILNS1_25lookback_scan_determinismE0ELb0ENS1_19wrapped_scan_configINS0_14default_configEiEEPKiPlSt4plusIvEiiNS1_19lookback_scan_stateIiLb1ELb1EEEEEvT2_T3_mT5_T4_T7_jPT6_SK_bb
		.amdhsa_group_segment_fixed_size 0
		.amdhsa_private_segment_fixed_size 0
		.amdhsa_kernarg_size 68
		.amdhsa_user_sgpr_count 2
		.amdhsa_user_sgpr_dispatch_ptr 0
		.amdhsa_user_sgpr_queue_ptr 0
		.amdhsa_user_sgpr_kernarg_segment_ptr 1
		.amdhsa_user_sgpr_dispatch_id 0
		.amdhsa_user_sgpr_kernarg_preload_length 0
		.amdhsa_user_sgpr_kernarg_preload_offset 0
		.amdhsa_user_sgpr_private_segment_size 0
		.amdhsa_uses_dynamic_stack 0
		.amdhsa_enable_private_segment 0
		.amdhsa_system_sgpr_workgroup_id_x 1
		.amdhsa_system_sgpr_workgroup_id_y 0
		.amdhsa_system_sgpr_workgroup_id_z 0
		.amdhsa_system_sgpr_workgroup_info 0
		.amdhsa_system_vgpr_workitem_id 0
		.amdhsa_next_free_vgpr 1
		.amdhsa_next_free_sgpr 0
		.amdhsa_accum_offset 4
		.amdhsa_reserve_vcc 0
		.amdhsa_float_round_mode_32 0
		.amdhsa_float_round_mode_16_64 0
		.amdhsa_float_denorm_mode_32 3
		.amdhsa_float_denorm_mode_16_64 3
		.amdhsa_dx10_clamp 1
		.amdhsa_ieee_mode 1
		.amdhsa_fp16_overflow 0
		.amdhsa_tg_split 0
		.amdhsa_exception_fp_ieee_invalid_op 0
		.amdhsa_exception_fp_denorm_src 0
		.amdhsa_exception_fp_ieee_div_zero 0
		.amdhsa_exception_fp_ieee_overflow 0
		.amdhsa_exception_fp_ieee_underflow 0
		.amdhsa_exception_fp_ieee_inexact 0
		.amdhsa_exception_int_div_zero 0
	.end_amdhsa_kernel
	.section	.text._ZN7rocprim17ROCPRIM_304000_NS6detail20lookback_scan_kernelILNS1_25lookback_scan_determinismE0ELb0ENS1_19wrapped_scan_configINS0_14default_configEiEEPKiPlSt4plusIvEiiNS1_19lookback_scan_stateIiLb1ELb1EEEEEvT2_T3_mT5_T4_T7_jPT6_SK_bb,"axG",@progbits,_ZN7rocprim17ROCPRIM_304000_NS6detail20lookback_scan_kernelILNS1_25lookback_scan_determinismE0ELb0ENS1_19wrapped_scan_configINS0_14default_configEiEEPKiPlSt4plusIvEiiNS1_19lookback_scan_stateIiLb1ELb1EEEEEvT2_T3_mT5_T4_T7_jPT6_SK_bb,comdat
.Lfunc_end12:
	.size	_ZN7rocprim17ROCPRIM_304000_NS6detail20lookback_scan_kernelILNS1_25lookback_scan_determinismE0ELb0ENS1_19wrapped_scan_configINS0_14default_configEiEEPKiPlSt4plusIvEiiNS1_19lookback_scan_stateIiLb1ELb1EEEEEvT2_T3_mT5_T4_T7_jPT6_SK_bb, .Lfunc_end12-_ZN7rocprim17ROCPRIM_304000_NS6detail20lookback_scan_kernelILNS1_25lookback_scan_determinismE0ELb0ENS1_19wrapped_scan_configINS0_14default_configEiEEPKiPlSt4plusIvEiiNS1_19lookback_scan_stateIiLb1ELb1EEEEEvT2_T3_mT5_T4_T7_jPT6_SK_bb
                                        ; -- End function
	.section	.AMDGPU.csdata,"",@progbits
; Kernel info:
; codeLenInByte = 4
; NumSgprs: 6
; NumVgprs: 0
; NumAgprs: 0
; TotalNumVgprs: 0
; ScratchSize: 0
; MemoryBound: 0
; FloatMode: 240
; IeeeMode: 1
; LDSByteSize: 0 bytes/workgroup (compile time only)
; SGPRBlocks: 0
; VGPRBlocks: 0
; NumSGPRsForWavesPerEU: 6
; NumVGPRsForWavesPerEU: 1
; AccumOffset: 4
; Occupancy: 8
; WaveLimiterHint : 0
; COMPUTE_PGM_RSRC2:SCRATCH_EN: 0
; COMPUTE_PGM_RSRC2:USER_SGPR: 2
; COMPUTE_PGM_RSRC2:TRAP_HANDLER: 0
; COMPUTE_PGM_RSRC2:TGID_X_EN: 1
; COMPUTE_PGM_RSRC2:TGID_Y_EN: 0
; COMPUTE_PGM_RSRC2:TGID_Z_EN: 0
; COMPUTE_PGM_RSRC2:TIDIG_COMP_CNT: 0
; COMPUTE_PGM_RSRC3_GFX90A:ACCUM_OFFSET: 0
; COMPUTE_PGM_RSRC3_GFX90A:TG_SPLIT: 0
	.section	.text._ZN7rocprim17ROCPRIM_304000_NS6detail20lookback_scan_kernelILNS1_25lookback_scan_determinismE0ELb0ENS1_19wrapped_scan_configINS0_14default_configEiEEPKiPlSt4plusIvEiiNS1_19lookback_scan_stateIiLb0ELb1EEEEEvT2_T3_mT5_T4_T7_jPT6_SK_bb,"axG",@progbits,_ZN7rocprim17ROCPRIM_304000_NS6detail20lookback_scan_kernelILNS1_25lookback_scan_determinismE0ELb0ENS1_19wrapped_scan_configINS0_14default_configEiEEPKiPlSt4plusIvEiiNS1_19lookback_scan_stateIiLb0ELb1EEEEEvT2_T3_mT5_T4_T7_jPT6_SK_bb,comdat
	.protected	_ZN7rocprim17ROCPRIM_304000_NS6detail20lookback_scan_kernelILNS1_25lookback_scan_determinismE0ELb0ENS1_19wrapped_scan_configINS0_14default_configEiEEPKiPlSt4plusIvEiiNS1_19lookback_scan_stateIiLb0ELb1EEEEEvT2_T3_mT5_T4_T7_jPT6_SK_bb ; -- Begin function _ZN7rocprim17ROCPRIM_304000_NS6detail20lookback_scan_kernelILNS1_25lookback_scan_determinismE0ELb0ENS1_19wrapped_scan_configINS0_14default_configEiEEPKiPlSt4plusIvEiiNS1_19lookback_scan_stateIiLb0ELb1EEEEEvT2_T3_mT5_T4_T7_jPT6_SK_bb
	.globl	_ZN7rocprim17ROCPRIM_304000_NS6detail20lookback_scan_kernelILNS1_25lookback_scan_determinismE0ELb0ENS1_19wrapped_scan_configINS0_14default_configEiEEPKiPlSt4plusIvEiiNS1_19lookback_scan_stateIiLb0ELb1EEEEEvT2_T3_mT5_T4_T7_jPT6_SK_bb
	.p2align	8
	.type	_ZN7rocprim17ROCPRIM_304000_NS6detail20lookback_scan_kernelILNS1_25lookback_scan_determinismE0ELb0ENS1_19wrapped_scan_configINS0_14default_configEiEEPKiPlSt4plusIvEiiNS1_19lookback_scan_stateIiLb0ELb1EEEEEvT2_T3_mT5_T4_T7_jPT6_SK_bb,@function
_ZN7rocprim17ROCPRIM_304000_NS6detail20lookback_scan_kernelILNS1_25lookback_scan_determinismE0ELb0ENS1_19wrapped_scan_configINS0_14default_configEiEEPKiPlSt4plusIvEiiNS1_19lookback_scan_stateIiLb0ELb1EEEEEvT2_T3_mT5_T4_T7_jPT6_SK_bb: ; @_ZN7rocprim17ROCPRIM_304000_NS6detail20lookback_scan_kernelILNS1_25lookback_scan_determinismE0ELb0ENS1_19wrapped_scan_configINS0_14default_configEiEEPKiPlSt4plusIvEiiNS1_19lookback_scan_stateIiLb0ELb1EEEEEvT2_T3_mT5_T4_T7_jPT6_SK_bb
; %bb.0:
	s_load_dword s3, s[0:1], 0x28
	s_load_dwordx4 s[8:11], s[0:1], 0x0
	s_load_dwordx2 s[4:5], s[0:1], 0x10
	s_mul_i32 s12, s2, 0x1500
	s_mov_b32 s13, 0
	s_waitcnt lgkmcnt(0)
	s_add_i32 s3, s3, -1
	s_mul_i32 s6, s3, 0x1500
	s_sub_u32 s20, s4, s6
	s_subb_u32 s21, s5, 0
	s_cmp_lg_u32 s2, s3
	s_cselect_b64 s[14:15], -1, 0
	s_lshl_b64 s[4:5], s[12:13], 2
	s_add_u32 s6, s8, s4
	s_addc_u32 s7, s9, s5
	s_mov_b64 s[4:5], -1
	s_and_b64 vcc, exec, s[14:15]
	s_cbranch_vccz .LBB13_2
; %bb.1:
	v_lshlrev_b32_e32 v2, 2, v0
	v_mov_b32_e32 v3, 0
	v_lshl_add_u64 v[4:5], s[6:7], 0, v[2:3]
	v_add_co_u32_e32 v6, vcc, 0x1000, v4
	global_load_dword v1, v2, s[6:7]
	global_load_dword v3, v2, s[6:7] offset:1024
	global_load_dword v10, v2, s[6:7] offset:2048
	;; [unrolled: 1-line block ×3, first 2 shown]
	v_addc_co_u32_e32 v7, vcc, 0, v5, vcc
	v_add_co_u32_e32 v8, vcc, 0x2000, v4
	s_mov_b64 s[4:5], 0
	s_nop 0
	v_addc_co_u32_e32 v9, vcc, 0, v5, vcc
	global_load_dword v12, v[6:7], off
	global_load_dword v13, v[6:7], off offset:1024
	global_load_dword v14, v[6:7], off offset:2048
	;; [unrolled: 1-line block ×3, first 2 shown]
	global_load_dword v16, v[8:9], off
	global_load_dword v17, v[8:9], off offset:1024
	global_load_dword v18, v[8:9], off offset:2048
	;; [unrolled: 1-line block ×3, first 2 shown]
	v_add_co_u32_e32 v6, vcc, 0x3000, v4
	s_nop 1
	v_addc_co_u32_e32 v7, vcc, 0, v5, vcc
	v_add_co_u32_e32 v8, vcc, 0x4000, v4
	s_nop 1
	v_addc_co_u32_e32 v9, vcc, 0, v5, vcc
	global_load_dword v20, v[6:7], off
	global_load_dword v21, v[6:7], off offset:1024
	global_load_dword v22, v[6:7], off offset:2048
	;; [unrolled: 1-line block ×3, first 2 shown]
	global_load_dword v24, v[8:9], off
	global_load_dword v25, v[8:9], off offset:1024
	global_load_dword v26, v[8:9], off offset:2048
	;; [unrolled: 1-line block ×3, first 2 shown]
	v_add_co_u32_e32 v4, vcc, 0x5000, v4
	s_nop 1
	v_addc_co_u32_e32 v5, vcc, 0, v5, vcc
	global_load_dword v4, v[4:5], off
	s_waitcnt vmcnt(19)
	ds_write2st64_b32 v2, v1, v3 offset1:4
	s_waitcnt vmcnt(17)
	ds_write2st64_b32 v2, v10, v11 offset0:8 offset1:12
	s_waitcnt vmcnt(15)
	ds_write2st64_b32 v2, v12, v13 offset0:16 offset1:20
	;; [unrolled: 2-line block ×9, first 2 shown]
	s_waitcnt vmcnt(0)
	ds_write_b32 v2, v4 offset:20480
	s_waitcnt lgkmcnt(0)
	s_barrier
.LBB13_2:
	s_andn2_b64 vcc, exec, s[4:5]
	v_cmp_gt_u32_e64 s[4:5], s20, v0
	s_cbranch_vccnz .LBB13_46
; %bb.3:
	s_load_dword s3, s[6:7], 0x0
	v_lshlrev_b32_e32 v2, 2, v0
	v_mov_b32_e32 v3, 0
	v_lshl_add_u64 v[4:5], s[6:7], 0, v[2:3]
	s_waitcnt lgkmcnt(0)
	v_mov_b32_e32 v1, s3
	s_and_saveexec_b64 s[6:7], s[4:5]
	s_cbranch_execz .LBB13_5
; %bb.4:
	global_load_dword v1, v[4:5], off
.LBB13_5:
	s_or_b64 exec, exec, s[6:7]
	v_or_b32_e32 v3, 0x100, v0
	v_cmp_gt_u32_e32 vcc, s20, v3
	v_mov_b32_e32 v3, s3
	s_and_saveexec_b64 s[4:5], vcc
	s_cbranch_execz .LBB13_7
; %bb.6:
	global_load_dword v3, v[4:5], off offset:1024
.LBB13_7:
	s_or_b64 exec, exec, s[4:5]
	v_or_b32_e32 v6, 0x200, v0
	v_cmp_gt_u32_e32 vcc, s20, v6
	v_mov_b32_e32 v6, s3
	s_and_saveexec_b64 s[4:5], vcc
	s_cbranch_execz .LBB13_9
; %bb.8:
	global_load_dword v6, v[4:5], off offset:2048
.LBB13_9:
	;; [unrolled: 9-line block ×3, first 2 shown]
	s_or_b64 exec, exec, s[4:5]
	v_or_b32_e32 v8, 0x400, v0
	v_cmp_gt_u32_e32 vcc, s20, v8
	v_mov_b32_e32 v8, s3
	s_and_saveexec_b64 s[4:5], vcc
	s_cbranch_execz .LBB13_13
; %bb.12:
	v_add_co_u32_e32 v8, vcc, 0x1000, v4
	s_nop 1
	v_addc_co_u32_e32 v9, vcc, 0, v5, vcc
	global_load_dword v8, v[8:9], off
.LBB13_13:
	s_or_b64 exec, exec, s[4:5]
	v_or_b32_e32 v9, 0x500, v0
	v_cmp_gt_u32_e32 vcc, s20, v9
	v_mov_b32_e32 v9, s3
	s_and_saveexec_b64 s[4:5], vcc
	s_cbranch_execz .LBB13_15
; %bb.14:
	v_add_co_u32_e32 v10, vcc, 0x1000, v4
	s_nop 1
	v_addc_co_u32_e32 v11, vcc, 0, v5, vcc
	global_load_dword v9, v[10:11], off offset:1024
.LBB13_15:
	s_or_b64 exec, exec, s[4:5]
	v_or_b32_e32 v10, 0x600, v0
	v_cmp_gt_u32_e32 vcc, s20, v10
	v_mov_b32_e32 v10, s3
	s_and_saveexec_b64 s[4:5], vcc
	s_cbranch_execz .LBB13_17
; %bb.16:
	v_add_co_u32_e32 v10, vcc, 0x1000, v4
	s_nop 1
	v_addc_co_u32_e32 v11, vcc, 0, v5, vcc
	global_load_dword v10, v[10:11], off offset:2048
.LBB13_17:
	s_or_b64 exec, exec, s[4:5]
	v_or_b32_e32 v11, 0x700, v0
	v_cmp_gt_u32_e32 vcc, s20, v11
	v_mov_b32_e32 v11, s3
	s_and_saveexec_b64 s[4:5], vcc
	s_cbranch_execz .LBB13_19
; %bb.18:
	v_add_co_u32_e32 v12, vcc, 0x1000, v4
	s_nop 1
	v_addc_co_u32_e32 v13, vcc, 0, v5, vcc
	global_load_dword v11, v[12:13], off offset:3072
.LBB13_19:
	s_or_b64 exec, exec, s[4:5]
	v_or_b32_e32 v12, 0x800, v0
	v_cmp_gt_u32_e32 vcc, s20, v12
	v_mov_b32_e32 v12, s3
	s_and_saveexec_b64 s[4:5], vcc
	s_cbranch_execz .LBB13_21
; %bb.20:
	v_add_co_u32_e32 v12, vcc, 0x2000, v4
	s_nop 1
	v_addc_co_u32_e32 v13, vcc, 0, v5, vcc
	global_load_dword v12, v[12:13], off
.LBB13_21:
	s_or_b64 exec, exec, s[4:5]
	v_or_b32_e32 v13, 0x900, v0
	v_cmp_gt_u32_e32 vcc, s20, v13
	v_mov_b32_e32 v13, s3
	s_and_saveexec_b64 s[4:5], vcc
	s_cbranch_execz .LBB13_23
; %bb.22:
	v_add_co_u32_e32 v14, vcc, 0x2000, v4
	s_nop 1
	v_addc_co_u32_e32 v15, vcc, 0, v5, vcc
	global_load_dword v13, v[14:15], off offset:1024
.LBB13_23:
	s_or_b64 exec, exec, s[4:5]
	v_or_b32_e32 v14, 0xa00, v0
	v_cmp_gt_u32_e32 vcc, s20, v14
	v_mov_b32_e32 v14, s3
	s_and_saveexec_b64 s[4:5], vcc
	s_cbranch_execz .LBB13_25
; %bb.24:
	v_add_co_u32_e32 v14, vcc, 0x2000, v4
	s_nop 1
	v_addc_co_u32_e32 v15, vcc, 0, v5, vcc
	global_load_dword v14, v[14:15], off offset:2048
.LBB13_25:
	s_or_b64 exec, exec, s[4:5]
	v_or_b32_e32 v15, 0xb00, v0
	v_cmp_gt_u32_e32 vcc, s20, v15
	v_mov_b32_e32 v15, s3
	s_and_saveexec_b64 s[4:5], vcc
	s_cbranch_execz .LBB13_27
; %bb.26:
	v_add_co_u32_e32 v16, vcc, 0x2000, v4
	s_nop 1
	v_addc_co_u32_e32 v17, vcc, 0, v5, vcc
	global_load_dword v15, v[16:17], off offset:3072
.LBB13_27:
	;; [unrolled: 48-line block ×4, first 2 shown]
	s_or_b64 exec, exec, s[4:5]
	v_or_b32_e32 v24, 0x1400, v0
	v_cmp_gt_u32_e32 vcc, s20, v24
	v_mov_b32_e32 v24, s3
	s_and_saveexec_b64 s[4:5], vcc
	s_cbranch_execz .LBB13_45
; %bb.44:
	v_add_co_u32_e32 v4, vcc, 0x5000, v4
	s_nop 1
	v_addc_co_u32_e32 v5, vcc, 0, v5, vcc
	global_load_dword v24, v[4:5], off
.LBB13_45:
	s_or_b64 exec, exec, s[4:5]
	s_waitcnt vmcnt(0)
	ds_write2st64_b32 v2, v1, v3 offset1:4
	ds_write2st64_b32 v2, v6, v7 offset0:8 offset1:12
	ds_write2st64_b32 v2, v8, v9 offset0:16 offset1:20
	;; [unrolled: 1-line block ×9, first 2 shown]
	ds_write_b32 v2, v24 offset:20480
	s_waitcnt lgkmcnt(0)
	s_barrier
.LBB13_46:
	v_mul_u32_u24_e32 v32, 21, v0
	v_lshlrev_b32_e32 v1, 2, v32
	ds_read2_b32 v[18:19], v1 offset1:1
	ds_read2_b32 v[20:21], v1 offset0:2 offset1:3
	ds_read2_b32 v[16:17], v1 offset0:4 offset1:5
	;; [unrolled: 1-line block ×9, first 2 shown]
	ds_read_b32 v1, v1 offset:80
	s_load_dwordx2 s[8:9], s[0:1], 0x20
	s_cmp_lg_u32 s2, 0
	v_mbcnt_lo_u32_b32 v35, -1, 0
	v_lshrrev_b32_e32 v33, 6, v0
	v_or_b32_e32 v34, 63, v0
	s_waitcnt lgkmcnt(0)
	s_barrier
	s_cbranch_scc0 .LBB13_73
; %bb.47:
	v_add3_u32 v22, v19, v18, v20
	v_add3_u32 v22, v22, v21, v16
	;; [unrolled: 1-line block ×9, first 2 shown]
	v_mbcnt_hi_u32_b32 v25, -1, v35
	v_add3_u32 v22, v22, v3, v1
	v_and_b32_e32 v23, 15, v25
	v_cmp_ne_u32_e32 vcc, 0, v23
	v_mov_b32_dpp v24, v22 row_shr:1 row_mask:0xf bank_mask:0xf
	s_nop 0
	v_cndmask_b32_e32 v24, 0, v24, vcc
	v_add_u32_e32 v22, v24, v22
	v_cmp_lt_u32_e32 vcc, 1, v23
	s_nop 0
	v_mov_b32_dpp v24, v22 row_shr:2 row_mask:0xf bank_mask:0xf
	v_cndmask_b32_e32 v24, 0, v24, vcc
	v_add_u32_e32 v22, v22, v24
	v_cmp_lt_u32_e32 vcc, 3, v23
	s_nop 0
	v_mov_b32_dpp v24, v22 row_shr:4 row_mask:0xf bank_mask:0xf
	;; [unrolled: 5-line block ×3, first 2 shown]
	v_cndmask_b32_e32 v23, 0, v24, vcc
	v_add_u32_e32 v22, v22, v23
	v_bfe_i32 v24, v25, 4, 1
	v_cmp_lt_u32_e32 vcc, 31, v25
	v_mov_b32_dpp v23, v22 row_bcast:15 row_mask:0xf bank_mask:0xf
	v_and_b32_e32 v23, v24, v23
	v_add_u32_e32 v22, v22, v23
	s_nop 1
	v_mov_b32_dpp v23, v22 row_bcast:31 row_mask:0xf bank_mask:0xf
	v_cndmask_b32_e32 v23, 0, v23, vcc
	v_add_u32_e32 v22, v22, v23
	v_cmp_eq_u32_e32 vcc, v34, v0
	s_and_saveexec_b64 s[4:5], vcc
	s_cbranch_execz .LBB13_49
; %bb.48:
	v_lshlrev_b32_e32 v23, 2, v33
	ds_write_b32 v23, v22
.LBB13_49:
	s_or_b64 exec, exec, s[4:5]
	v_cmp_gt_u32_e32 vcc, 4, v0
	s_waitcnt lgkmcnt(0)
	s_barrier
	s_and_saveexec_b64 s[4:5], vcc
	s_cbranch_execz .LBB13_51
; %bb.50:
	v_lshlrev_b32_e32 v23, 2, v0
	ds_read_b32 v24, v23
	v_and_b32_e32 v26, 3, v25
	v_cmp_ne_u32_e32 vcc, 0, v26
	s_waitcnt lgkmcnt(0)
	v_mov_b32_dpp v27, v24 row_shr:1 row_mask:0xf bank_mask:0xf
	v_cndmask_b32_e32 v27, 0, v27, vcc
	v_add_u32_e32 v24, v27, v24
	v_cmp_lt_u32_e32 vcc, 1, v26
	s_nop 0
	v_mov_b32_dpp v27, v24 row_shr:2 row_mask:0xf bank_mask:0xf
	v_cndmask_b32_e32 v26, 0, v27, vcc
	v_add_u32_e32 v24, v24, v26
	ds_write_b32 v23, v24
.LBB13_51:
	s_or_b64 exec, exec, s[4:5]
	v_cmp_gt_u32_e32 vcc, 64, v0
	v_cmp_lt_u32_e64 s[4:5], 63, v0
	s_waitcnt lgkmcnt(0)
	s_barrier
	s_waitcnt lgkmcnt(0)
                                        ; implicit-def: $vgpr36
	s_and_saveexec_b64 s[6:7], s[4:5]
	s_cbranch_execz .LBB13_53
; %bb.52:
	v_lshl_add_u32 v23, v33, 2, -4
	ds_read_b32 v36, v23
	s_waitcnt lgkmcnt(0)
	v_add_u32_e32 v22, v36, v22
.LBB13_53:
	s_or_b64 exec, exec, s[6:7]
	v_add_u32_e32 v23, -1, v25
	v_and_b32_e32 v24, 64, v25
	v_cmp_lt_i32_e64 s[4:5], v23, v24
	s_nop 1
	v_cndmask_b32_e64 v23, v23, v25, s[4:5]
	v_lshlrev_b32_e32 v23, 2, v23
	ds_bpermute_b32 v37, v23, v22
	v_cmp_eq_u32_e64 s[4:5], 0, v25
	s_and_saveexec_b64 s[6:7], vcc
	s_cbranch_execz .LBB13_72
; %bb.54:
	v_mov_b32_e32 v29, 0
	ds_read_b32 v22, v29 offset:12
	s_and_saveexec_b64 s[16:17], s[4:5]
	s_cbranch_execz .LBB13_56
; %bb.55:
	s_add_i32 s18, s2, 64
	s_mov_b32 s19, 0
	s_lshl_b64 s[18:19], s[18:19], 3
	s_add_u32 s18, s8, s18
	s_addc_u32 s19, s9, s19
	v_mov_b32_e32 v23, 1
	s_waitcnt lgkmcnt(0)
	global_store_dwordx2 v29, v[22:23], s[18:19] sc1
.LBB13_56:
	s_or_b64 exec, exec, s[16:17]
	v_xad_u32 v24, v25, -1, s2
	v_add_u32_e32 v28, 64, v24
	v_lshl_add_u64 v[30:31], v[28:29], 3, s[8:9]
	global_load_dwordx2 v[26:27], v[30:31], off sc1
	s_waitcnt vmcnt(0)
	v_cmp_eq_u16_sdwa s[18:19], v27, v29 src0_sel:BYTE_0 src1_sel:DWORD
	s_and_saveexec_b64 s[16:17], s[18:19]
	s_cbranch_execz .LBB13_60
; %bb.57:
	s_mov_b64 s[18:19], 0
	v_mov_b32_e32 v23, 0
.LBB13_58:                              ; =>This Inner Loop Header: Depth=1
	global_load_dwordx2 v[26:27], v[30:31], off sc1
	s_waitcnt vmcnt(0)
	v_cmp_ne_u16_sdwa s[22:23], v27, v23 src0_sel:BYTE_0 src1_sel:DWORD
	s_or_b64 s[18:19], s[22:23], s[18:19]
	s_andn2_b64 exec, exec, s[18:19]
	s_cbranch_execnz .LBB13_58
; %bb.59:
	s_or_b64 exec, exec, s[18:19]
.LBB13_60:
	s_or_b64 exec, exec, s[16:17]
	v_and_b32_e32 v46, 63, v25
	v_mov_b32_e32 v23, 2
	v_cmp_ne_u32_e32 vcc, 63, v46
	v_cmp_eq_u16_sdwa s[16:17], v27, v23 src0_sel:BYTE_0 src1_sel:DWORD
	v_lshlrev_b64 v[28:29], v25, -1
	v_addc_co_u32_e32 v38, vcc, 0, v25, vcc
	v_and_b32_e32 v30, s17, v29
	v_lshlrev_b32_e32 v38, 2, v38
	v_or_b32_e32 v30, 0x80000000, v30
	ds_bpermute_b32 v40, v38, v26
	v_and_b32_e32 v31, s16, v28
	v_ffbl_b32_e32 v30, v30
	v_add_u32_e32 v30, 32, v30
	v_ffbl_b32_e32 v31, v31
	v_min_u32_e32 v30, v31, v30
	v_add_u32_e32 v39, 1, v25
	v_cmp_le_u32_e32 vcc, v39, v30
	v_add_u32_e32 v41, 2, v25
	v_add_u32_e32 v43, 4, v25
	s_waitcnt lgkmcnt(0)
	v_cndmask_b32_e32 v31, 0, v40, vcc
	v_cmp_gt_u32_e32 vcc, 62, v46
	v_add_u32_e32 v26, v31, v26
	v_add_u32_e32 v45, 8, v25
	v_cndmask_b32_e64 v31, 0, 1, vcc
	v_lshlrev_b32_e32 v31, 1, v31
	v_add_lshl_u32 v40, v31, v25, 2
	ds_bpermute_b32 v31, v40, v26
	v_cmp_le_u32_e32 vcc, v41, v30
	v_add_u32_e32 v48, 16, v25
	v_add_u32_e32 v50, 32, v25
	s_waitcnt lgkmcnt(0)
	v_cndmask_b32_e32 v31, 0, v31, vcc
	v_cmp_gt_u32_e32 vcc, 60, v46
	v_add_u32_e32 v26, v26, v31
	s_nop 0
	v_cndmask_b32_e64 v31, 0, 1, vcc
	v_lshlrev_b32_e32 v31, 2, v31
	v_add_lshl_u32 v42, v31, v25, 2
	ds_bpermute_b32 v31, v42, v26
	v_cmp_le_u32_e32 vcc, v43, v30
	s_waitcnt lgkmcnt(0)
	s_nop 0
	v_cndmask_b32_e32 v31, 0, v31, vcc
	v_cmp_gt_u32_e32 vcc, 56, v46
	v_add_u32_e32 v26, v26, v31
	s_nop 0
	v_cndmask_b32_e64 v31, 0, 1, vcc
	v_lshlrev_b32_e32 v31, 3, v31
	v_add_lshl_u32 v44, v31, v25, 2
	ds_bpermute_b32 v31, v44, v26
	v_cmp_le_u32_e32 vcc, v45, v30
	s_waitcnt lgkmcnt(0)
	s_nop 0
	;; [unrolled: 11-line block ×4, first 2 shown]
	v_cndmask_b32_e32 v25, 0, v31, vcc
	v_add_u32_e32 v26, v26, v25
	v_mov_b32_e32 v25, 0
	s_branch .LBB13_62
.LBB13_61:                              ;   in Loop: Header=BB13_62 Depth=1
	s_or_b64 exec, exec, s[16:17]
	v_cmp_eq_u16_sdwa s[16:17], v27, v23 src0_sel:BYTE_0 src1_sel:DWORD
	ds_bpermute_b32 v51, v38, v26
	v_subrev_u32_e32 v24, 64, v24
	v_and_b32_e32 v30, s17, v29
	v_or_b32_e32 v30, 0x80000000, v30
	v_and_b32_e32 v31, s16, v28
	v_ffbl_b32_e32 v30, v30
	v_add_u32_e32 v30, 32, v30
	v_ffbl_b32_e32 v31, v31
	v_min_u32_e32 v30, v31, v30
	v_cmp_le_u32_e32 vcc, v39, v30
	s_waitcnt lgkmcnt(0)
	s_nop 0
	v_cndmask_b32_e32 v31, 0, v51, vcc
	v_add_u32_e32 v26, v31, v26
	ds_bpermute_b32 v31, v40, v26
	v_cmp_le_u32_e32 vcc, v41, v30
	s_waitcnt lgkmcnt(0)
	s_nop 0
	v_cndmask_b32_e32 v31, 0, v31, vcc
	v_add_u32_e32 v26, v26, v31
	ds_bpermute_b32 v31, v42, v26
	;; [unrolled: 6-line block ×5, first 2 shown]
	v_cmp_le_u32_e32 vcc, v50, v30
	s_waitcnt lgkmcnt(0)
	s_nop 0
	v_cndmask_b32_e32 v30, 0, v31, vcc
	v_add3_u32 v26, v30, v46, v26
.LBB13_62:                              ; =>This Loop Header: Depth=1
                                        ;     Child Loop BB13_65 Depth 2
	v_cmp_ne_u16_sdwa s[16:17], v27, v23 src0_sel:BYTE_0 src1_sel:DWORD
	v_mov_b32_e32 v46, v26
	s_nop 0
	v_cndmask_b32_e64 v27, 0, 1, s[16:17]
	;;#ASMSTART
	;;#ASMEND
	s_nop 0
	v_cmp_ne_u32_e32 vcc, 0, v27
	s_cmp_lg_u64 vcc, exec
	s_cbranch_scc1 .LBB13_67
; %bb.63:                               ;   in Loop: Header=BB13_62 Depth=1
	v_lshl_add_u64 v[30:31], v[24:25], 3, s[8:9]
	global_load_dwordx2 v[26:27], v[30:31], off sc1
	s_waitcnt vmcnt(0)
	v_cmp_eq_u16_sdwa s[18:19], v27, v25 src0_sel:BYTE_0 src1_sel:DWORD
	s_and_saveexec_b64 s[16:17], s[18:19]
	s_cbranch_execz .LBB13_61
; %bb.64:                               ;   in Loop: Header=BB13_62 Depth=1
	s_mov_b64 s[18:19], 0
.LBB13_65:                              ;   Parent Loop BB13_62 Depth=1
                                        ; =>  This Inner Loop Header: Depth=2
	global_load_dwordx2 v[26:27], v[30:31], off sc1
	s_waitcnt vmcnt(0)
	v_cmp_ne_u16_sdwa s[22:23], v27, v25 src0_sel:BYTE_0 src1_sel:DWORD
	s_or_b64 s[18:19], s[22:23], s[18:19]
	s_andn2_b64 exec, exec, s[18:19]
	s_cbranch_execnz .LBB13_65
; %bb.66:                               ;   in Loop: Header=BB13_62 Depth=1
	s_or_b64 exec, exec, s[18:19]
	s_branch .LBB13_61
.LBB13_67:                              ;   in Loop: Header=BB13_62 Depth=1
                                        ; implicit-def: $vgpr26
                                        ; implicit-def: $vgpr27
	s_cbranch_execz .LBB13_62
; %bb.68:
	s_and_saveexec_b64 s[16:17], s[4:5]
	s_cbranch_execz .LBB13_70
; %bb.69:
	s_add_i32 s2, s2, 64
	s_mov_b32 s3, 0
	s_lshl_b64 s[2:3], s[2:3], 3
	s_add_u32 s2, s8, s2
	s_addc_u32 s3, s9, s3
	v_mov_b32_e32 v24, 0
	v_add_u32_e32 v22, v46, v22
	v_mov_b32_e32 v23, 2
	global_store_dwordx2 v24, v[22:23], s[2:3] sc1
.LBB13_70:
	s_or_b64 exec, exec, s[16:17]
	v_cmp_eq_u32_e32 vcc, 0, v0
	s_and_b64 exec, exec, vcc
	s_cbranch_execz .LBB13_72
; %bb.71:
	v_mov_b32_e32 v22, 0
	ds_write_b32 v22, v46 offset:12
.LBB13_72:
	s_or_b64 exec, exec, s[6:7]
	v_mov_b32_e32 v22, 0
	s_waitcnt lgkmcnt(0)
	s_barrier
	ds_read_b32 v22, v22 offset:12
	v_cndmask_b32_e64 v23, v37, v36, s[4:5]
	v_cmp_ne_u32_e32 vcc, 0, v0
	s_nop 1
	v_cndmask_b32_e32 v23, 0, v23, vcc
	s_waitcnt lgkmcnt(0)
	v_add3_u32 v22, v23, v18, v22
	s_load_dwordx4 s[4:7], s[0:1], 0x30
	s_branch .LBB13_85
.LBB13_73:
                                        ; implicit-def: $vgpr22
	s_load_dwordx4 s[4:7], s[0:1], 0x30
	s_cbranch_execz .LBB13_85
; %bb.74:
	s_load_dword s2, s[0:1], 0x40
	v_cmp_eq_u32_e32 vcc, 0, v0
	s_waitcnt lgkmcnt(0)
	s_bitcmp1_b32 s2, 0
	s_cselect_b64 s[2:3], -1, 0
	s_and_b64 s[16:17], vcc, s[2:3]
	s_and_saveexec_b64 s[2:3], s[16:17]
	s_cbranch_execz .LBB13_76
; %bb.75:
	s_load_dword s4, s[4:5], 0x0
	s_waitcnt lgkmcnt(0)
	v_add_u32_e32 v18, s4, v18
.LBB13_76:
	s_or_b64 exec, exec, s[2:3]
	v_add3_u32 v22, v20, v19, v21
	v_add3_u32 v22, v22, v16, v17
	;; [unrolled: 1-line block ×10, first 2 shown]
	v_mbcnt_hi_u32_b32 v22, -1, v35
	v_and_b32_e32 v24, 15, v22
	v_mov_b32_dpp v25, v23 row_shr:1 row_mask:0xf bank_mask:0xf
	v_cmp_ne_u32_e64 s[2:3], 0, v24
	s_nop 1
	v_cndmask_b32_e64 v25, 0, v25, s[2:3]
	v_add_u32_e32 v23, v23, v25
	v_cmp_lt_u32_e64 s[2:3], 1, v24
	s_nop 0
	v_mov_b32_dpp v25, v23 row_shr:2 row_mask:0xf bank_mask:0xf
	v_cndmask_b32_e64 v25, 0, v25, s[2:3]
	v_add_u32_e32 v23, v23, v25
	v_cmp_lt_u32_e64 s[2:3], 3, v24
	s_nop 0
	v_mov_b32_dpp v25, v23 row_shr:4 row_mask:0xf bank_mask:0xf
	;; [unrolled: 5-line block ×3, first 2 shown]
	v_cndmask_b32_e64 v24, 0, v25, s[2:3]
	v_add_u32_e32 v23, v23, v24
	v_bfe_i32 v25, v22, 4, 1
	v_cmp_lt_u32_e64 s[2:3], 31, v22
	v_mov_b32_dpp v24, v23 row_bcast:15 row_mask:0xf bank_mask:0xf
	v_and_b32_e32 v24, v25, v24
	v_add_u32_e32 v23, v23, v24
	s_nop 1
	v_mov_b32_dpp v24, v23 row_bcast:31 row_mask:0xf bank_mask:0xf
	v_cndmask_b32_e64 v24, 0, v24, s[2:3]
	v_add_u32_e32 v23, v23, v24
	v_cmp_eq_u32_e64 s[2:3], v34, v0
	s_and_saveexec_b64 s[4:5], s[2:3]
	s_cbranch_execz .LBB13_78
; %bb.77:
	v_lshlrev_b32_e32 v24, 2, v33
	ds_write_b32 v24, v23
.LBB13_78:
	s_or_b64 exec, exec, s[4:5]
	v_cmp_gt_u32_e64 s[2:3], 4, v0
	s_waitcnt lgkmcnt(0)
	s_barrier
	s_and_saveexec_b64 s[4:5], s[2:3]
	s_cbranch_execz .LBB13_80
; %bb.79:
	v_lshlrev_b32_e32 v24, 2, v0
	ds_read_b32 v25, v24
	v_and_b32_e32 v26, 3, v22
	v_cmp_ne_u32_e64 s[2:3], 0, v26
	s_waitcnt lgkmcnt(0)
	v_mov_b32_dpp v27, v25 row_shr:1 row_mask:0xf bank_mask:0xf
	v_cndmask_b32_e64 v27, 0, v27, s[2:3]
	v_add_u32_e32 v25, v27, v25
	v_cmp_lt_u32_e64 s[2:3], 1, v26
	s_nop 0
	v_mov_b32_dpp v27, v25 row_shr:2 row_mask:0xf bank_mask:0xf
	v_cndmask_b32_e64 v26, 0, v27, s[2:3]
	v_add_u32_e32 v25, v25, v26
	ds_write_b32 v24, v25
.LBB13_80:
	s_or_b64 exec, exec, s[4:5]
	v_cmp_lt_u32_e64 s[2:3], 63, v0
	s_waitcnt lgkmcnt(0)
	s_barrier
	s_waitcnt lgkmcnt(0)
                                        ; implicit-def: $vgpr24
	s_and_saveexec_b64 s[4:5], s[2:3]
	s_cbranch_execz .LBB13_82
; %bb.81:
	v_lshl_add_u32 v24, v33, 2, -4
	ds_read_b32 v24, v24
	s_waitcnt lgkmcnt(0)
	v_add_u32_e32 v23, v24, v23
.LBB13_82:
	s_or_b64 exec, exec, s[4:5]
	v_add_u32_e32 v25, -1, v22
	v_and_b32_e32 v26, 64, v22
	v_cmp_lt_i32_e64 s[2:3], v25, v26
	s_nop 1
	v_cndmask_b32_e64 v25, v25, v22, s[2:3]
	v_lshlrev_b32_e32 v25, 2, v25
	ds_bpermute_b32 v23, v25, v23
	v_cmp_eq_u32_e64 s[2:3], 0, v22
	s_waitcnt lgkmcnt(0)
	s_nop 0
	v_cndmask_b32_e64 v22, v23, v24, s[2:3]
	v_cndmask_b32_e64 v22, v22, 0, vcc
	s_and_saveexec_b64 s[2:3], vcc
	s_cbranch_execz .LBB13_84
; %bb.83:
	v_mov_b32_e32 v23, 0
	ds_read_b32 v24, v23 offset:12
	v_mov_b32_e32 v25, 2
	s_waitcnt lgkmcnt(0)
	global_store_dwordx2 v23, v[24:25], s[8:9] offset:512 sc1
.LBB13_84:
	s_or_b64 exec, exec, s[2:3]
	v_add_u32_e32 v22, v22, v18
.LBB13_85:
	v_add_u32_e32 v18, v22, v19
	v_add_u32_e32 v19, v18, v20
	;; [unrolled: 1-line block ×18, first 2 shown]
	s_lshl_b64 s[2:3], s[12:13], 3
	v_add_u32_e32 v23, v21, v3
	s_add_u32 s2, s10, s2
	v_add_u32_e32 v1, v23, v1
	s_addc_u32 s3, s11, s3
	s_waitcnt lgkmcnt(0)
	s_mov_b64 s[4:5], -1
	s_and_b64 vcc, exec, s[14:15]
	v_lshlrev_b32_e32 v2, 3, v0
	s_barrier
	s_cbranch_vccz .LBB13_87
; %bb.86:
	v_mul_u32_u24_e32 v3, 0x54, v0
	s_movk_i32 s4, 0x54
	ds_write2_b32 v3, v22, v18 offset1:1
	ds_write2_b32 v3, v19, v20 offset0:2 offset1:3
	ds_write2_b32 v3, v16, v17 offset0:4 offset1:5
	;; [unrolled: 1-line block ×9, first 2 shown]
	ds_write_b32 v3, v1 offset:80
	v_mul_i32_i24_e32 v3, 0xffffffb0, v0
	v_mad_u32_u24 v3, v0, s4, v3
	s_waitcnt lgkmcnt(0)
	s_barrier
	ds_read2st64_b32 v[24:25], v3 offset1:4
	ds_read2st64_b32 v[28:29], v3 offset0:8 offset1:12
	ds_read2st64_b32 v[38:39], v3 offset0:24 offset1:28
	;; [unrolled: 1-line block ×4, first 2 shown]
	s_waitcnt lgkmcnt(4)
	v_ashrrev_i32_e32 v27, 31, v24
	v_mov_b32_e32 v26, v24
	v_ashrrev_i32_e32 v31, 31, v25
	v_mov_b32_e32 v30, v25
	ds_read2st64_b32 v[24:25], v3 offset0:16 offset1:20
	s_waitcnt lgkmcnt(4)
	v_ashrrev_i32_e32 v35, 31, v28
	v_mov_b32_e32 v34, v28
	v_ashrrev_i32_e32 v37, 31, v29
	v_mov_b32_e32 v36, v29
	s_waitcnt lgkmcnt(0)
	v_ashrrev_i32_e32 v29, 31, v24
	v_mov_b32_e32 v28, v24
	v_ashrrev_i32_e32 v41, 31, v25
	v_mov_b32_e32 v40, v25
	ds_read2st64_b32 v[24:25], v3 offset0:32 offset1:36
	v_ashrrev_i32_e32 v43, 31, v38
	v_mov_b32_e32 v42, v38
	v_ashrrev_i32_e32 v45, 31, v39
	v_mov_b32_e32 v44, v39
	s_waitcnt lgkmcnt(0)
	v_ashrrev_i32_e32 v39, 31, v24
	v_mov_b32_e32 v38, v24
	v_ashrrev_i32_e32 v49, 31, v25
	v_mov_b32_e32 v48, v25
	ds_read2st64_b32 v[24:25], v3 offset0:48 offset1:52
	;; [unrolled: 10-line block ×3, first 2 shown]
	ds_read2st64_b32 v[62:63], v3 offset0:72 offset1:76
	v_ashrrev_i32_e32 v59, 31, v54
	v_mov_b32_e32 v58, v54
	v_ashrrev_i32_e32 v61, 31, v55
	v_mov_b32_e32 v60, v55
	s_waitcnt lgkmcnt(1)
	v_ashrrev_i32_e32 v55, 31, v24
	v_mov_b32_e32 v54, v24
	ds_read_b32 v24, v3 offset:20480
	v_mov_b32_e32 v3, 0
	s_waitcnt lgkmcnt(1)
	v_ashrrev_i32_e32 v67, 31, v62
	v_mov_b32_e32 v66, v62
	v_ashrrev_i32_e32 v69, 31, v63
	v_mov_b32_e32 v68, v63
	v_lshl_add_u64 v[62:63], s[2:3], 0, v[2:3]
	s_movk_i32 s4, 0x1000
	global_store_dwordx2 v2, v[26:27], s[2:3]
	global_store_dwordx2 v2, v[30:31], s[2:3] offset:2048
	v_add_co_u32_e32 v26, vcc, s4, v62
	s_movk_i32 s4, 0x2000
	s_nop 0
	v_addc_co_u32_e32 v27, vcc, 0, v63, vcc
	v_add_co_u32_e32 v30, vcc, s4, v62
	s_movk_i32 s4, 0x3000
	s_nop 0
	v_addc_co_u32_e32 v31, vcc, 0, v63, vcc
	global_store_dwordx2 v[30:31], v[34:35], off offset:-4096
	global_store_dwordx2 v[26:27], v[36:37], off offset:2048
	global_store_dwordx2 v[30:31], v[28:29], off
	global_store_dwordx2 v[30:31], v[40:41], off offset:2048
	v_add_co_u32_e32 v26, vcc, s4, v62
	s_movk_i32 s4, 0x4000
	s_nop 0
	v_addc_co_u32_e32 v27, vcc, 0, v63, vcc
	v_add_co_u32_e32 v28, vcc, s4, v62
	s_movk_i32 s4, 0x5000
	s_nop 0
	v_addc_co_u32_e32 v29, vcc, 0, v63, vcc
	global_store_dwordx2 v[28:29], v[42:43], off offset:-4096
	global_store_dwordx2 v[26:27], v[44:45], off offset:2048
	global_store_dwordx2 v[28:29], v[38:39], off
	global_store_dwordx2 v[28:29], v[48:49], off offset:2048
	;; [unrolled: 12-line block ×3, first 2 shown]
	v_add_co_u32_e32 v26, vcc, s4, v62
	s_mov_b32 s4, 0x8000
	s_nop 0
	v_addc_co_u32_e32 v27, vcc, 0, v63, vcc
	v_add_co_u32_e32 v28, vcc, s4, v62
	v_ashrrev_i32_e32 v65, 31, v25
	s_nop 0
	v_addc_co_u32_e32 v29, vcc, 0, v63, vcc
	v_mov_b32_e32 v64, v25
	global_store_dwordx2 v[28:29], v[58:59], off offset:-4096
	global_store_dwordx2 v[26:27], v[60:61], off offset:2048
	global_store_dwordx2 v[28:29], v[54:55], off
	global_store_dwordx2 v[28:29], v[64:65], off offset:2048
	v_add_co_u32_e32 v26, vcc, 0x9000, v62
	s_waitcnt lgkmcnt(0)
	v_ashrrev_i32_e32 v25, 31, v24
	v_addc_co_u32_e32 v27, vcc, 0, v63, vcc
	global_store_dwordx2 v[26:27], v[66:67], off
	global_store_dwordx2 v[26:27], v[68:69], off offset:2048
	v_add_co_u32_e32 v26, vcc, 0xa000, v62
	s_mov_b64 s[4:5], 0
	s_nop 0
	v_addc_co_u32_e32 v27, vcc, 0, v63, vcc
	global_store_dwordx2 v[26:27], v[24:25], off
.LBB13_87:
	s_andn2_b64 vcc, exec, s[4:5]
	s_cbranch_vccnz .LBB13_208
; %bb.88:
	v_mul_u32_u24_e32 v3, 0x54, v0
	s_movk_i32 s4, 0x54
	ds_write2_b32 v3, v22, v18 offset1:1
	ds_write2_b32 v3, v19, v20 offset0:2 offset1:3
	ds_write2_b32 v3, v16, v17 offset0:4 offset1:5
	;; [unrolled: 1-line block ×9, first 2 shown]
	ds_write_b32 v3, v1 offset:80
	v_mul_i32_i24_e32 v1, 0xffffffb0, v0
	v_mad_u32_u24 v1, v0, s4, v1
	s_waitcnt lgkmcnt(0)
	s_barrier
	ds_read2st64_b32 v[6:7], v1 offset1:4
	ds_read2st64_b32 v[8:9], v1 offset0:8 offset1:12
	ds_read2st64_b32 v[10:11], v1 offset0:16 offset1:20
	ds_read2st64_b32 v[14:15], v1 offset0:24 offset1:28
	ds_read2st64_b32 v[12:13], v1 offset0:32 offset1:36
	ds_read2st64_b32 v[4:5], v1 offset0:40 offset1:44
	ds_read2st64_b32 v[16:17], v1 offset0:48 offset1:52
	ds_read2st64_b32 v[18:19], v1 offset0:56 offset1:60
	ds_read2st64_b32 v[22:23], v1 offset0:64 offset1:68
	ds_read2st64_b32 v[20:21], v1 offset0:72 offset1:76
	ds_read_b32 v24, v1 offset:20480
	v_mov_b32_e32 v3, 0
	v_lshl_add_u64 v[26:27], s[2:3], 0, v[2:3]
	v_cmp_gt_u32_e32 vcc, s20, v0
	s_and_saveexec_b64 s[2:3], vcc
	s_cbranch_execz .LBB13_90
; %bb.89:
	s_waitcnt lgkmcnt(10)
	v_ashrrev_i32_e32 v29, 31, v6
	v_mov_b32_e32 v28, v6
	global_store_dwordx2 v[26:27], v[28:29], off
.LBB13_90:
	s_or_b64 exec, exec, s[2:3]
	v_or_b32_e32 v1, 0x100, v0
	v_cmp_gt_u32_e32 vcc, s20, v1
	s_and_saveexec_b64 s[2:3], vcc
	s_cbranch_execz .LBB13_92
; %bb.91:
	s_waitcnt lgkmcnt(10)
	v_ashrrev_i32_e32 v29, 31, v7
	v_mov_b32_e32 v28, v7
	global_store_dwordx2 v[26:27], v[28:29], off offset:2048
.LBB13_92:
	s_or_b64 exec, exec, s[2:3]
	v_or_b32_e32 v1, 0x200, v0
	v_cmp_gt_u32_e32 vcc, s20, v1
	s_and_saveexec_b64 s[2:3], vcc
	s_cbranch_execz .LBB13_94
; %bb.93:
	v_add_co_u32_e32 v30, vcc, 0x1000, v26
	s_waitcnt lgkmcnt(9)
	v_ashrrev_i32_e32 v29, 31, v8
	v_mov_b32_e32 v28, v8
	v_addc_co_u32_e32 v31, vcc, 0, v27, vcc
	global_store_dwordx2 v[30:31], v[28:29], off
.LBB13_94:
	s_or_b64 exec, exec, s[2:3]
	v_or_b32_e32 v1, 0x300, v0
	v_cmp_gt_u32_e32 vcc, s20, v1
	s_and_saveexec_b64 s[2:3], vcc
	s_cbranch_execz .LBB13_96
; %bb.95:
	v_add_co_u32_e32 v30, vcc, 0x1000, v26
	s_waitcnt lgkmcnt(9)
	v_ashrrev_i32_e32 v29, 31, v9
	v_mov_b32_e32 v28, v9
	v_addc_co_u32_e32 v31, vcc, 0, v27, vcc
	global_store_dwordx2 v[30:31], v[28:29], off offset:2048
.LBB13_96:
	s_or_b64 exec, exec, s[2:3]
	v_or_b32_e32 v1, 0x400, v0
	v_cmp_gt_u32_e32 vcc, s20, v1
	s_and_saveexec_b64 s[2:3], vcc
	s_cbranch_execz .LBB13_98
; %bb.97:
	v_add_co_u32_e32 v30, vcc, 0x2000, v26
	s_waitcnt lgkmcnt(8)
	v_ashrrev_i32_e32 v29, 31, v10
	v_mov_b32_e32 v28, v10
	v_addc_co_u32_e32 v31, vcc, 0, v27, vcc
	global_store_dwordx2 v[30:31], v[28:29], off
.LBB13_98:
	s_or_b64 exec, exec, s[2:3]
	v_or_b32_e32 v1, 0x500, v0
	v_cmp_gt_u32_e32 vcc, s20, v1
	s_and_saveexec_b64 s[2:3], vcc
	s_cbranch_execz .LBB13_100
; %bb.99:
	v_add_co_u32_e32 v30, vcc, 0x2000, v26
	s_waitcnt lgkmcnt(8)
	v_ashrrev_i32_e32 v29, 31, v11
	v_mov_b32_e32 v28, v11
	v_addc_co_u32_e32 v31, vcc, 0, v27, vcc
	global_store_dwordx2 v[30:31], v[28:29], off offset:2048
.LBB13_100:
	;; [unrolled: 26-line block ×9, first 2 shown]
	s_or_b64 exec, exec, s[2:3]
	v_or_b32_e32 v1, 0x1400, v0
	v_cmp_gt_u32_e32 vcc, s20, v1
	s_and_saveexec_b64 s[2:3], vcc
	s_cbranch_execz .LBB13_130
; %bb.129:
	v_add_co_u32_e32 v26, vcc, 0xa000, v26
	s_waitcnt lgkmcnt(0)
	v_ashrrev_i32_e32 v25, 31, v24
	v_addc_co_u32_e32 v27, vcc, 0, v27, vcc
	global_store_dwordx2 v[26:27], v[24:25], off
.LBB13_130:
	s_or_b64 exec, exec, s[2:3]
	s_load_dword s0, s[0:1], 0x40
	s_waitcnt lgkmcnt(0)
	s_bfe_u32 s0, s0, 0x10008
	s_cmp_eq_u32 s0, 0
	s_cbranch_scc1 .LBB13_208
; %bb.131:
	s_add_u32 s0, s20, -1
	s_addc_u32 s1, s21, -1
	s_add_u32 s2, 0, 0x30c26c00
	s_addc_u32 s3, 0, 44
	s_add_i32 s3, s3, 0xc30c2e0
	s_mul_hi_u32 s9, s2, 0xffffffeb
	s_sub_i32 s9, s9, s2
	s_mul_i32 s10, s3, 0xffffffeb
	s_mul_i32 s4, s2, 0xffffffeb
	s_add_i32 s9, s9, s10
	s_mul_hi_u32 s5, s3, s4
	s_mul_i32 s8, s3, s4
	s_mul_i32 s11, s2, s9
	s_mul_hi_u32 s4, s2, s4
	s_mul_hi_u32 s10, s2, s9
	s_add_u32 s4, s4, s11
	s_addc_u32 s10, 0, s10
	s_add_u32 s4, s4, s8
	s_mul_hi_u32 s11, s3, s9
	s_addc_u32 s4, s10, s5
	s_addc_u32 s5, s11, 0
	s_mul_i32 s8, s3, s9
	s_add_u32 s4, s4, s8
	v_mov_b32_e32 v2, s4
	s_addc_u32 s5, 0, s5
	v_add_co_u32_e32 v2, vcc, s2, v2
	s_cmp_lg_u64 vcc, 0
	s_addc_u32 s2, s3, s5
	v_readfirstlane_b32 s5, v2
	s_mul_i32 s4, s0, s2
	s_mul_hi_u32 s8, s0, s5
	s_mul_hi_u32 s3, s0, s2
	s_add_u32 s4, s8, s4
	s_addc_u32 s3, 0, s3
	s_mul_hi_u32 s9, s1, s5
	s_mul_i32 s5, s1, s5
	s_add_u32 s4, s4, s5
	s_mul_hi_u32 s8, s1, s2
	s_addc_u32 s3, s3, s9
	s_addc_u32 s4, s8, 0
	s_mul_i32 s2, s1, s2
	s_add_u32 s2, s3, s2
	s_addc_u32 s3, 0, s4
	s_add_u32 s4, s2, 1
	s_addc_u32 s5, s3, 0
	s_add_u32 s8, s2, 2
	s_mul_i32 s10, s3, 21
	s_mul_hi_u32 s11, s2, 21
	s_addc_u32 s9, s3, 0
	s_add_i32 s11, s11, s10
	s_mul_i32 s10, s2, 21
	v_mov_b32_e32 v2, s10
	v_sub_co_u32_e32 v2, vcc, s0, v2
	s_cmp_lg_u64 vcc, 0
	v_mov_b32_e32 v1, v3
	s_subb_u32 s10, s1, s11
	v_subrev_co_u32_e32 v3, vcc, 21, v2
	s_cmp_lg_u64 vcc, 0
	s_subb_u32 s11, s10, 0
	v_readfirstlane_b32 s12, v3
	s_cmp_gt_u32 s12, 20
	s_cselect_b32 s12, -1, 0
	s_cmp_eq_u32 s11, 0
	s_cselect_b32 s11, s12, -1
	s_cmp_lg_u32 s11, 0
	s_cselect_b32 s4, s8, s4
	v_readfirstlane_b32 s8, v2
	s_cselect_b32 s5, s9, s5
	s_cmp_gt_u32 s8, 20
	s_cselect_b32 s8, -1, 0
	s_cmp_eq_u32 s10, 0
	s_cselect_b32 s8, s8, -1
	s_cmp_lg_u32 s8, 0
	s_cselect_b32 s3, s5, s3
	s_cselect_b32 s2, s4, s2
	v_cmp_eq_u64_e32 vcc, s[2:3], v[0:1]
	s_and_saveexec_b64 s[2:3], vcc
	s_cbranch_execz .LBB13_208
; %bb.132:
	v_mul_hi_u32_u24_e32 v1, 21, v0
	v_mov_b32_e32 v2, s1
	v_sub_co_u32_e32 v0, vcc, s0, v32
	s_nop 1
	v_subb_co_u32_e32 v1, vcc, v2, v1, vcc
	v_cmp_lt_i64_e32 vcc, 10, v[0:1]
	s_and_saveexec_b64 s[0:1], vcc
	s_xor_b64 s[0:1], exec, s[0:1]
	s_cbranch_execz .LBB13_170
; %bb.133:
	v_cmp_lt_i64_e32 vcc, 15, v[0:1]
	s_and_saveexec_b64 s[2:3], vcc
	s_xor_b64 s[2:3], exec, s[2:3]
	s_cbranch_execz .LBB13_151
; %bb.134:
	;; [unrolled: 5-line block ×5, first 2 shown]
	v_mov_b32_e32 v0, 0
	global_store_dword v0, v24, s[6:7]
                                        ; implicit-def: $vgpr20_vgpr21
.LBB13_138:
	s_andn2_saveexec_b64 s[10:11], s[10:11]
	s_cbranch_execz .LBB13_140
; %bb.139:
	v_mov_b32_e32 v0, 0
	global_store_dword v0, v21, s[6:7]
.LBB13_140:
	s_or_b64 exec, exec, s[10:11]
                                        ; implicit-def: $vgpr20_vgpr21
.LBB13_141:
	s_andn2_saveexec_b64 s[8:9], s[8:9]
	s_cbranch_execz .LBB13_143
; %bb.142:
	v_mov_b32_e32 v0, 0
	global_store_dword v0, v20, s[6:7]
.LBB13_143:
	s_or_b64 exec, exec, s[8:9]
                                        ; implicit-def: $vgpr22_vgpr23
                                        ; implicit-def: $vgpr0_vgpr1
.LBB13_144:
	s_andn2_saveexec_b64 s[4:5], s[4:5]
	s_cbranch_execz .LBB13_150
; %bb.145:
	v_cmp_lt_i64_e32 vcc, 16, v[0:1]
	s_and_saveexec_b64 s[8:9], vcc
	s_xor_b64 s[8:9], exec, s[8:9]
	s_cbranch_execz .LBB13_147
; %bb.146:
	v_mov_b32_e32 v0, 0
	global_store_dword v0, v23, s[6:7]
                                        ; implicit-def: $vgpr22_vgpr23
.LBB13_147:
	s_andn2_saveexec_b64 s[8:9], s[8:9]
	s_cbranch_execz .LBB13_149
; %bb.148:
	v_mov_b32_e32 v0, 0
	global_store_dword v0, v22, s[6:7]
.LBB13_149:
	s_or_b64 exec, exec, s[8:9]
.LBB13_150:
	s_or_b64 exec, exec, s[4:5]
                                        ; implicit-def: $vgpr0_vgpr1
                                        ; implicit-def: $vgpr4_vgpr5
                                        ; implicit-def: $vgpr16_vgpr17
                                        ; implicit-def: $vgpr18_vgpr19
.LBB13_151:
	s_andn2_saveexec_b64 s[2:3], s[2:3]
	s_cbranch_execz .LBB13_169
; %bb.152:
	v_cmp_lt_i64_e32 vcc, 12, v[0:1]
	s_and_saveexec_b64 s[4:5], vcc
	s_xor_b64 s[4:5], exec, s[4:5]
	s_cbranch_execz .LBB13_162
; %bb.153:
	v_cmp_lt_i64_e32 vcc, 13, v[0:1]
	s_and_saveexec_b64 s[8:9], vcc
	s_xor_b64 s[8:9], exec, s[8:9]
	;; [unrolled: 5-line block ×3, first 2 shown]
	s_cbranch_execz .LBB13_156
; %bb.155:
	v_mov_b32_e32 v0, 0
	global_store_dword v0, v19, s[6:7]
                                        ; implicit-def: $vgpr18_vgpr19
.LBB13_156:
	s_andn2_saveexec_b64 s[10:11], s[10:11]
	s_cbranch_execz .LBB13_158
; %bb.157:
	v_mov_b32_e32 v0, 0
	global_store_dword v0, v18, s[6:7]
.LBB13_158:
	s_or_b64 exec, exec, s[10:11]
                                        ; implicit-def: $vgpr16_vgpr17
.LBB13_159:
	s_andn2_saveexec_b64 s[8:9], s[8:9]
	s_cbranch_execz .LBB13_161
; %bb.160:
	v_mov_b32_e32 v0, 0
	global_store_dword v0, v17, s[6:7]
.LBB13_161:
	s_or_b64 exec, exec, s[8:9]
                                        ; implicit-def: $vgpr4_vgpr5
                                        ; implicit-def: $vgpr0_vgpr1
                                        ; implicit-def: $vgpr16_vgpr17
.LBB13_162:
	s_andn2_saveexec_b64 s[4:5], s[4:5]
	s_cbranch_execz .LBB13_168
; %bb.163:
	v_cmp_lt_i64_e32 vcc, 11, v[0:1]
	s_and_saveexec_b64 s[8:9], vcc
	s_xor_b64 s[8:9], exec, s[8:9]
	s_cbranch_execz .LBB13_165
; %bb.164:
	v_mov_b32_e32 v0, 0
	global_store_dword v0, v16, s[6:7]
                                        ; implicit-def: $vgpr4_vgpr5
.LBB13_165:
	s_andn2_saveexec_b64 s[8:9], s[8:9]
	s_cbranch_execz .LBB13_167
; %bb.166:
	v_mov_b32_e32 v0, 0
	global_store_dword v0, v5, s[6:7]
.LBB13_167:
	s_or_b64 exec, exec, s[8:9]
.LBB13_168:
	s_or_b64 exec, exec, s[4:5]
.LBB13_169:
	s_or_b64 exec, exec, s[2:3]
                                        ; implicit-def: $vgpr0_vgpr1
                                        ; implicit-def: $vgpr14_vgpr15
                                        ; implicit-def: $vgpr8_vgpr9
                                        ; implicit-def: $vgpr6_vgpr7
                                        ; implicit-def: $vgpr12_vgpr13
                                        ; implicit-def: $vgpr10_vgpr11
                                        ; implicit-def: $vgpr4_vgpr5
.LBB13_170:
	s_andn2_saveexec_b64 s[0:1], s[0:1]
	s_cbranch_execz .LBB13_208
; %bb.171:
	v_cmp_lt_i64_e32 vcc, 5, v[0:1]
	s_and_saveexec_b64 s[0:1], vcc
	s_xor_b64 s[0:1], exec, s[0:1]
	s_cbranch_execz .LBB13_189
; %bb.172:
	v_cmp_lt_i64_e32 vcc, 7, v[0:1]
	s_and_saveexec_b64 s[2:3], vcc
	s_xor_b64 s[2:3], exec, s[2:3]
	;; [unrolled: 5-line block ×4, first 2 shown]
	s_cbranch_execz .LBB13_176
; %bb.175:
	v_mov_b32_e32 v0, 0
	global_store_dword v0, v4, s[6:7]
                                        ; implicit-def: $vgpr12_vgpr13
.LBB13_176:
	s_andn2_saveexec_b64 s[8:9], s[8:9]
	s_cbranch_execz .LBB13_178
; %bb.177:
	v_mov_b32_e32 v0, 0
	global_store_dword v0, v13, s[6:7]
.LBB13_178:
	s_or_b64 exec, exec, s[8:9]
                                        ; implicit-def: $vgpr12_vgpr13
.LBB13_179:
	s_andn2_saveexec_b64 s[4:5], s[4:5]
	s_cbranch_execz .LBB13_181
; %bb.180:
	v_mov_b32_e32 v0, 0
	global_store_dword v0, v12, s[6:7]
.LBB13_181:
	s_or_b64 exec, exec, s[4:5]
                                        ; implicit-def: $vgpr14_vgpr15
                                        ; implicit-def: $vgpr0_vgpr1
.LBB13_182:
	s_andn2_saveexec_b64 s[2:3], s[2:3]
	s_cbranch_execz .LBB13_188
; %bb.183:
	v_cmp_lt_i64_e32 vcc, 6, v[0:1]
	s_and_saveexec_b64 s[4:5], vcc
	s_xor_b64 s[4:5], exec, s[4:5]
	s_cbranch_execz .LBB13_185
; %bb.184:
	v_mov_b32_e32 v0, 0
	global_store_dword v0, v15, s[6:7]
                                        ; implicit-def: $vgpr14_vgpr15
.LBB13_185:
	s_andn2_saveexec_b64 s[4:5], s[4:5]
	s_cbranch_execz .LBB13_187
; %bb.186:
	v_mov_b32_e32 v0, 0
	global_store_dword v0, v14, s[6:7]
.LBB13_187:
	s_or_b64 exec, exec, s[4:5]
.LBB13_188:
	s_or_b64 exec, exec, s[2:3]
                                        ; implicit-def: $vgpr0_vgpr1
                                        ; implicit-def: $vgpr8_vgpr9
                                        ; implicit-def: $vgpr6_vgpr7
                                        ; implicit-def: $vgpr10_vgpr11
.LBB13_189:
	s_andn2_saveexec_b64 s[0:1], s[0:1]
	s_cbranch_execz .LBB13_208
; %bb.190:
	v_cmp_lt_i64_e32 vcc, 2, v[0:1]
	s_and_saveexec_b64 s[0:1], vcc
	s_xor_b64 s[0:1], exec, s[0:1]
	s_cbranch_execz .LBB13_200
; %bb.191:
	v_cmp_lt_i64_e32 vcc, 3, v[0:1]
	s_and_saveexec_b64 s[2:3], vcc
	s_xor_b64 s[2:3], exec, s[2:3]
	;; [unrolled: 5-line block ×3, first 2 shown]
	s_cbranch_execz .LBB13_194
; %bb.193:
	v_mov_b32_e32 v0, 0
	global_store_dword v0, v11, s[6:7]
                                        ; implicit-def: $vgpr10_vgpr11
.LBB13_194:
	s_andn2_saveexec_b64 s[4:5], s[4:5]
	s_cbranch_execz .LBB13_196
; %bb.195:
	v_mov_b32_e32 v0, 0
	global_store_dword v0, v10, s[6:7]
.LBB13_196:
	s_or_b64 exec, exec, s[4:5]
                                        ; implicit-def: $vgpr8_vgpr9
.LBB13_197:
	s_andn2_saveexec_b64 s[2:3], s[2:3]
	s_cbranch_execz .LBB13_199
; %bb.198:
	v_mov_b32_e32 v0, 0
	global_store_dword v0, v9, s[6:7]
.LBB13_199:
	s_or_b64 exec, exec, s[2:3]
                                        ; implicit-def: $vgpr0_vgpr1
                                        ; implicit-def: $vgpr8_vgpr9
                                        ; implicit-def: $vgpr6_vgpr7
.LBB13_200:
	s_andn2_saveexec_b64 s[0:1], s[0:1]
	s_cbranch_execz .LBB13_208
; %bb.201:
	v_cmp_lt_i64_e32 vcc, 1, v[0:1]
	s_and_saveexec_b64 s[0:1], vcc
	s_xor_b64 s[0:1], exec, s[0:1]
	s_cbranch_execz .LBB13_203
; %bb.202:
	v_mov_b32_e32 v0, 0
	global_store_dword v0, v8, s[6:7]
                                        ; implicit-def: $vgpr6_vgpr7
                                        ; implicit-def: $vgpr0_vgpr1
.LBB13_203:
	s_andn2_saveexec_b64 s[0:1], s[0:1]
	s_cbranch_execz .LBB13_208
; %bb.204:
	v_cmp_ne_u64_e32 vcc, 1, v[0:1]
	s_and_saveexec_b64 s[0:1], vcc
	s_xor_b64 s[0:1], exec, s[0:1]
	s_cbranch_execz .LBB13_206
; %bb.205:
	v_mov_b32_e32 v0, 0
	global_store_dword v0, v6, s[6:7]
                                        ; implicit-def: $vgpr6_vgpr7
.LBB13_206:
	s_andn2_saveexec_b64 s[0:1], s[0:1]
	s_cbranch_execz .LBB13_208
; %bb.207:
	v_mov_b32_e32 v0, 0
	global_store_dword v0, v7, s[6:7]
.LBB13_208:
	s_endpgm
	.section	.rodata,"a",@progbits
	.p2align	6, 0x0
	.amdhsa_kernel _ZN7rocprim17ROCPRIM_304000_NS6detail20lookback_scan_kernelILNS1_25lookback_scan_determinismE0ELb0ENS1_19wrapped_scan_configINS0_14default_configEiEEPKiPlSt4plusIvEiiNS1_19lookback_scan_stateIiLb0ELb1EEEEEvT2_T3_mT5_T4_T7_jPT6_SK_bb
		.amdhsa_group_segment_fixed_size 21504
		.amdhsa_private_segment_fixed_size 0
		.amdhsa_kernarg_size 68
		.amdhsa_user_sgpr_count 2
		.amdhsa_user_sgpr_dispatch_ptr 0
		.amdhsa_user_sgpr_queue_ptr 0
		.amdhsa_user_sgpr_kernarg_segment_ptr 1
		.amdhsa_user_sgpr_dispatch_id 0
		.amdhsa_user_sgpr_kernarg_preload_length 0
		.amdhsa_user_sgpr_kernarg_preload_offset 0
		.amdhsa_user_sgpr_private_segment_size 0
		.amdhsa_uses_dynamic_stack 0
		.amdhsa_enable_private_segment 0
		.amdhsa_system_sgpr_workgroup_id_x 1
		.amdhsa_system_sgpr_workgroup_id_y 0
		.amdhsa_system_sgpr_workgroup_id_z 0
		.amdhsa_system_sgpr_workgroup_info 0
		.amdhsa_system_vgpr_workitem_id 0
		.amdhsa_next_free_vgpr 70
		.amdhsa_next_free_sgpr 24
		.amdhsa_accum_offset 72
		.amdhsa_reserve_vcc 1
		.amdhsa_float_round_mode_32 0
		.amdhsa_float_round_mode_16_64 0
		.amdhsa_float_denorm_mode_32 3
		.amdhsa_float_denorm_mode_16_64 3
		.amdhsa_dx10_clamp 1
		.amdhsa_ieee_mode 1
		.amdhsa_fp16_overflow 0
		.amdhsa_tg_split 0
		.amdhsa_exception_fp_ieee_invalid_op 0
		.amdhsa_exception_fp_denorm_src 0
		.amdhsa_exception_fp_ieee_div_zero 0
		.amdhsa_exception_fp_ieee_overflow 0
		.amdhsa_exception_fp_ieee_underflow 0
		.amdhsa_exception_fp_ieee_inexact 0
		.amdhsa_exception_int_div_zero 0
	.end_amdhsa_kernel
	.section	.text._ZN7rocprim17ROCPRIM_304000_NS6detail20lookback_scan_kernelILNS1_25lookback_scan_determinismE0ELb0ENS1_19wrapped_scan_configINS0_14default_configEiEEPKiPlSt4plusIvEiiNS1_19lookback_scan_stateIiLb0ELb1EEEEEvT2_T3_mT5_T4_T7_jPT6_SK_bb,"axG",@progbits,_ZN7rocprim17ROCPRIM_304000_NS6detail20lookback_scan_kernelILNS1_25lookback_scan_determinismE0ELb0ENS1_19wrapped_scan_configINS0_14default_configEiEEPKiPlSt4plusIvEiiNS1_19lookback_scan_stateIiLb0ELb1EEEEEvT2_T3_mT5_T4_T7_jPT6_SK_bb,comdat
.Lfunc_end13:
	.size	_ZN7rocprim17ROCPRIM_304000_NS6detail20lookback_scan_kernelILNS1_25lookback_scan_determinismE0ELb0ENS1_19wrapped_scan_configINS0_14default_configEiEEPKiPlSt4plusIvEiiNS1_19lookback_scan_stateIiLb0ELb1EEEEEvT2_T3_mT5_T4_T7_jPT6_SK_bb, .Lfunc_end13-_ZN7rocprim17ROCPRIM_304000_NS6detail20lookback_scan_kernelILNS1_25lookback_scan_determinismE0ELb0ENS1_19wrapped_scan_configINS0_14default_configEiEEPKiPlSt4plusIvEiiNS1_19lookback_scan_stateIiLb0ELb1EEEEEvT2_T3_mT5_T4_T7_jPT6_SK_bb
                                        ; -- End function
	.section	.AMDGPU.csdata,"",@progbits
; Kernel info:
; codeLenInByte = 7388
; NumSgprs: 30
; NumVgprs: 70
; NumAgprs: 0
; TotalNumVgprs: 70
; ScratchSize: 0
; MemoryBound: 0
; FloatMode: 240
; IeeeMode: 1
; LDSByteSize: 21504 bytes/workgroup (compile time only)
; SGPRBlocks: 3
; VGPRBlocks: 8
; NumSGPRsForWavesPerEU: 30
; NumVGPRsForWavesPerEU: 70
; AccumOffset: 72
; Occupancy: 3
; WaveLimiterHint : 1
; COMPUTE_PGM_RSRC2:SCRATCH_EN: 0
; COMPUTE_PGM_RSRC2:USER_SGPR: 2
; COMPUTE_PGM_RSRC2:TRAP_HANDLER: 0
; COMPUTE_PGM_RSRC2:TGID_X_EN: 1
; COMPUTE_PGM_RSRC2:TGID_Y_EN: 0
; COMPUTE_PGM_RSRC2:TGID_Z_EN: 0
; COMPUTE_PGM_RSRC2:TIDIG_COMP_CNT: 0
; COMPUTE_PGM_RSRC3_GFX90A:ACCUM_OFFSET: 17
; COMPUTE_PGM_RSRC3_GFX90A:TG_SPLIT: 0
	.section	.text._ZN7rocprim17ROCPRIM_304000_NS6detail18single_scan_kernelILb0ENS1_19wrapped_scan_configINS0_14default_configEiEEPKiPlSt4plusIvEiiEEvT1_mT4_T2_T3_,"axG",@progbits,_ZN7rocprim17ROCPRIM_304000_NS6detail18single_scan_kernelILb0ENS1_19wrapped_scan_configINS0_14default_configEiEEPKiPlSt4plusIvEiiEEvT1_mT4_T2_T3_,comdat
	.protected	_ZN7rocprim17ROCPRIM_304000_NS6detail18single_scan_kernelILb0ENS1_19wrapped_scan_configINS0_14default_configEiEEPKiPlSt4plusIvEiiEEvT1_mT4_T2_T3_ ; -- Begin function _ZN7rocprim17ROCPRIM_304000_NS6detail18single_scan_kernelILb0ENS1_19wrapped_scan_configINS0_14default_configEiEEPKiPlSt4plusIvEiiEEvT1_mT4_T2_T3_
	.globl	_ZN7rocprim17ROCPRIM_304000_NS6detail18single_scan_kernelILb0ENS1_19wrapped_scan_configINS0_14default_configEiEEPKiPlSt4plusIvEiiEEvT1_mT4_T2_T3_
	.p2align	8
	.type	_ZN7rocprim17ROCPRIM_304000_NS6detail18single_scan_kernelILb0ENS1_19wrapped_scan_configINS0_14default_configEiEEPKiPlSt4plusIvEiiEEvT1_mT4_T2_T3_,@function
_ZN7rocprim17ROCPRIM_304000_NS6detail18single_scan_kernelILb0ENS1_19wrapped_scan_configINS0_14default_configEiEEPKiPlSt4plusIvEiiEEvT1_mT4_T2_T3_: ; @_ZN7rocprim17ROCPRIM_304000_NS6detail18single_scan_kernelILb0ENS1_19wrapped_scan_configINS0_14default_configEiEEPKiPlSt4plusIvEiiEEvT1_mT4_T2_T3_
; %bb.0:
	s_load_dwordx4 s[40:43], s[0:1], 0x0
	v_mov_b32_e32 v3, 0
	v_lshlrev_b32_e32 v2, 2, v0
	s_waitcnt lgkmcnt(0)
	s_load_dword s33, s[40:41], 0x0
	v_lshl_add_u64 v[4:5], s[40:41], 0, v[2:3]
	v_cmp_gt_u32_e64 s[2:3], s42, v0
	s_waitcnt lgkmcnt(0)
	v_mov_b32_e32 v1, s33
	s_and_saveexec_b64 s[4:5], s[2:3]
	s_cbranch_execz .LBB14_2
; %bb.1:
	global_load_dword v1, v[4:5], off
.LBB14_2:
	s_or_b64 exec, exec, s[4:5]
	v_or_b32_e32 v3, 0x100, v0
	v_cmp_gt_u32_e64 s[4:5], s42, v3
	v_mov_b32_e32 v3, s33
	s_and_saveexec_b64 s[6:7], s[4:5]
	s_cbranch_execz .LBB14_4
; %bb.3:
	global_load_dword v3, v[4:5], off offset:1024
.LBB14_4:
	s_or_b64 exec, exec, s[6:7]
	v_or_b32_e32 v6, 0x200, v0
	v_cmp_gt_u32_e64 s[10:11], s42, v6
	v_mov_b32_e32 v6, s33
	s_and_saveexec_b64 s[6:7], s[10:11]
	s_cbranch_execz .LBB14_6
; %bb.5:
	global_load_dword v6, v[4:5], off offset:2048
.LBB14_6:
	;; [unrolled: 9-line block ×3, first 2 shown]
	s_or_b64 exec, exec, s[8:9]
	v_or_b32_e32 v8, 0x400, v0
	v_cmp_gt_u32_e64 s[44:45], s42, v8
	v_mov_b32_e32 v8, s33
	s_and_saveexec_b64 s[8:9], s[44:45]
	s_cbranch_execz .LBB14_10
; %bb.9:
	v_add_co_u32_e32 v8, vcc, 0x1000, v4
	s_nop 1
	v_addc_co_u32_e32 v9, vcc, 0, v5, vcc
	global_load_dword v8, v[8:9], off
.LBB14_10:
	s_or_b64 exec, exec, s[8:9]
	v_or_b32_e32 v9, 0x500, v0
	v_cmp_gt_u32_e64 s[8:9], s42, v9
	v_mov_b32_e32 v9, s33
	s_and_saveexec_b64 s[12:13], s[8:9]
	s_cbranch_execz .LBB14_12
; %bb.11:
	v_add_co_u32_e32 v10, vcc, 0x1000, v4
	s_nop 1
	v_addc_co_u32_e32 v11, vcc, 0, v5, vcc
	global_load_dword v9, v[10:11], off offset:1024
.LBB14_12:
	s_or_b64 exec, exec, s[12:13]
	v_or_b32_e32 v10, 0x600, v0
	v_cmp_gt_u32_e64 s[12:13], s42, v10
	v_mov_b32_e32 v10, s33
	s_and_saveexec_b64 s[14:15], s[12:13]
	s_cbranch_execz .LBB14_14
; %bb.13:
	v_add_co_u32_e32 v10, vcc, 0x1000, v4
	s_nop 1
	v_addc_co_u32_e32 v11, vcc, 0, v5, vcc
	global_load_dword v10, v[10:11], off offset:2048
.LBB14_14:
	s_or_b64 exec, exec, s[14:15]
	v_or_b32_e32 v11, 0x700, v0
	v_cmp_gt_u32_e64 s[14:15], s42, v11
	v_mov_b32_e32 v11, s33
	s_and_saveexec_b64 s[16:17], s[14:15]
	s_cbranch_execz .LBB14_16
; %bb.15:
	v_add_co_u32_e32 v12, vcc, 0x1000, v4
	s_nop 1
	v_addc_co_u32_e32 v13, vcc, 0, v5, vcc
	global_load_dword v11, v[12:13], off offset:3072
.LBB14_16:
	s_or_b64 exec, exec, s[16:17]
	v_or_b32_e32 v12, 0x800, v0
	v_cmp_gt_u32_e64 s[16:17], s42, v12
	v_mov_b32_e32 v12, s33
	s_and_saveexec_b64 s[18:19], s[16:17]
	s_cbranch_execz .LBB14_18
; %bb.17:
	v_add_co_u32_e32 v12, vcc, 0x2000, v4
	s_nop 1
	v_addc_co_u32_e32 v13, vcc, 0, v5, vcc
	global_load_dword v12, v[12:13], off
.LBB14_18:
	s_or_b64 exec, exec, s[18:19]
	v_or_b32_e32 v13, 0x900, v0
	v_cmp_gt_u32_e64 s[18:19], s42, v13
	v_mov_b32_e32 v13, s33
	s_and_saveexec_b64 s[20:21], s[18:19]
	s_cbranch_execz .LBB14_20
; %bb.19:
	v_add_co_u32_e32 v14, vcc, 0x2000, v4
	s_nop 1
	v_addc_co_u32_e32 v15, vcc, 0, v5, vcc
	global_load_dword v13, v[14:15], off offset:1024
.LBB14_20:
	s_or_b64 exec, exec, s[20:21]
	v_or_b32_e32 v14, 0xa00, v0
	v_cmp_gt_u32_e64 s[20:21], s42, v14
	v_mov_b32_e32 v14, s33
	s_and_saveexec_b64 s[22:23], s[20:21]
	s_cbranch_execz .LBB14_22
; %bb.21:
	v_add_co_u32_e32 v14, vcc, 0x2000, v4
	s_nop 1
	v_addc_co_u32_e32 v15, vcc, 0, v5, vcc
	global_load_dword v14, v[14:15], off offset:2048
.LBB14_22:
	s_or_b64 exec, exec, s[22:23]
	v_or_b32_e32 v15, 0xb00, v0
	v_cmp_gt_u32_e64 s[22:23], s42, v15
	v_mov_b32_e32 v15, s33
	s_and_saveexec_b64 s[24:25], s[22:23]
	s_cbranch_execz .LBB14_24
; %bb.23:
	v_add_co_u32_e32 v16, vcc, 0x2000, v4
	s_nop 1
	v_addc_co_u32_e32 v17, vcc, 0, v5, vcc
	global_load_dword v15, v[16:17], off offset:3072
.LBB14_24:
	;; [unrolled: 48-line block ×4, first 2 shown]
	s_or_b64 exec, exec, s[46:47]
	v_or_b32_e32 v24, 0x1400, v0
	v_cmp_gt_u32_e64 s[42:43], s42, v24
	v_mov_b32_e32 v24, s33
	s_and_saveexec_b64 s[46:47], s[42:43]
	s_cbranch_execz .LBB14_42
; %bb.41:
	v_add_co_u32_e32 v4, vcc, 0x5000, v4
	s_nop 1
	v_addc_co_u32_e32 v5, vcc, 0, v5, vcc
	global_load_dword v24, v[4:5], off
.LBB14_42:
	s_or_b64 exec, exec, s[46:47]
	s_movk_i32 s33, 0x50
	s_waitcnt vmcnt(0)
	ds_write2st64_b32 v2, v1, v3 offset1:4
	ds_write2st64_b32 v2, v6, v7 offset0:8 offset1:12
	ds_write2st64_b32 v2, v8, v9 offset0:16 offset1:20
	;; [unrolled: 1-line block ×9, first 2 shown]
	ds_write_b32 v2, v24 offset:20480
	v_mad_u32_u24 v1, v0, s33, v2
	s_waitcnt lgkmcnt(0)
	s_barrier
	ds_read2_b32 v[22:23], v1 offset1:1
	ds_read2_b32 v[20:21], v1 offset0:2 offset1:3
	ds_read2_b32 v[18:19], v1 offset0:4 offset1:5
	;; [unrolled: 1-line block ×9, first 2 shown]
	ds_read_b32 v1, v1 offset:80
	s_waitcnt lgkmcnt(9)
	v_add3_u32 v3, v23, v22, v20
	s_waitcnt lgkmcnt(8)
	v_add3_u32 v3, v3, v21, v18
	;; [unrolled: 2-line block ×10, first 2 shown]
	v_mbcnt_lo_u32_b32 v3, -1, 0
	v_mbcnt_hi_u32_b32 v3, -1, v3
	v_and_b32_e32 v25, 15, v3
	v_mov_b32_dpp v26, v24 row_shr:1 row_mask:0xf bank_mask:0xf
	v_cmp_ne_u32_e32 vcc, 0, v25
	s_barrier
	s_nop 0
	v_cndmask_b32_e32 v26, 0, v26, vcc
	v_add_u32_e32 v24, v26, v24
	v_cmp_lt_u32_e32 vcc, 1, v25
	s_nop 0
	v_mov_b32_dpp v26, v24 row_shr:2 row_mask:0xf bank_mask:0xf
	v_cndmask_b32_e32 v26, 0, v26, vcc
	v_add_u32_e32 v24, v24, v26
	v_cmp_lt_u32_e32 vcc, 3, v25
	s_nop 0
	v_mov_b32_dpp v26, v24 row_shr:4 row_mask:0xf bank_mask:0xf
	;; [unrolled: 5-line block ×3, first 2 shown]
	v_cndmask_b32_e32 v25, 0, v26, vcc
	v_add_u32_e32 v24, v24, v25
	v_bfe_i32 v26, v3, 4, 1
	v_cmp_lt_u32_e32 vcc, 31, v3
	v_mov_b32_dpp v25, v24 row_bcast:15 row_mask:0xf bank_mask:0xf
	v_and_b32_e32 v25, v26, v25
	v_add_u32_e32 v24, v24, v25
	v_lshrrev_b32_e32 v26, 6, v0
	s_nop 0
	v_mov_b32_dpp v25, v24 row_bcast:31 row_mask:0xf bank_mask:0xf
	v_cndmask_b32_e32 v25, 0, v25, vcc
	v_add_u32_e32 v24, v24, v25
	v_or_b32_e32 v25, 63, v0
	v_cmp_eq_u32_e32 vcc, v25, v0
	s_and_saveexec_b64 s[46:47], vcc
	s_cbranch_execz .LBB14_44
; %bb.43:
	v_lshlrev_b32_e32 v25, 2, v26
	ds_write_b32 v25, v24
.LBB14_44:
	s_or_b64 exec, exec, s[46:47]
	v_cmp_gt_u32_e32 vcc, 4, v0
	s_waitcnt lgkmcnt(0)
	s_barrier
	s_and_saveexec_b64 s[46:47], vcc
	s_cbranch_execz .LBB14_46
; %bb.45:
	ds_read_b32 v25, v2
	v_and_b32_e32 v27, 3, v3
	v_cmp_ne_u32_e32 vcc, 0, v27
	s_waitcnt lgkmcnt(0)
	v_mov_b32_dpp v28, v25 row_shr:1 row_mask:0xf bank_mask:0xf
	v_cndmask_b32_e32 v28, 0, v28, vcc
	v_add_u32_e32 v25, v28, v25
	v_cmp_lt_u32_e32 vcc, 1, v27
	s_nop 0
	v_mov_b32_dpp v28, v25 row_shr:2 row_mask:0xf bank_mask:0xf
	v_cndmask_b32_e32 v27, 0, v28, vcc
	v_add_u32_e32 v25, v25, v27
	ds_write_b32 v2, v25
.LBB14_46:
	s_or_b64 exec, exec, s[46:47]
	v_mul_u32_u24_e32 v25, 0x50, v0
	v_cmp_lt_u32_e32 vcc, 63, v0
	s_waitcnt lgkmcnt(0)
	s_barrier
	s_waitcnt lgkmcnt(0)
                                        ; implicit-def: $vgpr27
	s_and_saveexec_b64 s[46:47], vcc
	s_cbranch_execz .LBB14_48
; %bb.47:
	v_lshl_add_u32 v26, v26, 2, -4
	ds_read_b32 v27, v26
	s_waitcnt lgkmcnt(0)
	v_add_u32_e32 v24, v27, v24
.LBB14_48:
	s_or_b64 exec, exec, s[46:47]
	v_add_u32_e32 v26, -1, v3
	v_and_b32_e32 v28, 64, v3
	v_cmp_lt_i32_e32 vcc, v26, v28
	s_barrier
	s_nop 0
	v_cndmask_b32_e32 v26, v26, v3, vcc
	v_lshlrev_b32_e32 v26, 2, v26
	ds_bpermute_b32 v24, v26, v24
	v_cmp_eq_u32_e32 vcc, 0, v3
	s_waitcnt lgkmcnt(0)
	s_load_dwordx2 s[0:1], s[0:1], 0x18
	v_cndmask_b32_e32 v3, v24, v27, vcc
	v_cmp_ne_u32_e32 vcc, 0, v0
	v_lshlrev_b32_e32 v0, 3, v0
	s_nop 0
	v_cndmask_b32_e32 v3, 0, v3, vcc
	v_add_u32_e32 v3, v3, v22
	v_add_u32_e32 v22, v3, v23
	;; [unrolled: 1-line block ×22, first 2 shown]
	ds_write2_b32 v23, v3, v22 offset1:1
	ds_write2_b32 v23, v20, v21 offset0:2 offset1:3
	ds_write2_b32 v23, v18, v19 offset0:4 offset1:5
	;; [unrolled: 1-line block ×9, first 2 shown]
	ds_write_b32 v23, v1 offset:80
	s_waitcnt lgkmcnt(0)
	s_barrier
	ds_read2st64_b32 v[22:23], v2 offset0:4 offset1:8
	ds_read2st64_b32 v[20:21], v2 offset0:12 offset1:16
	;; [unrolled: 1-line block ×10, first 2 shown]
	v_mov_b32_e32 v1, 0
	v_lshl_add_u64 v[0:1], s[0:1], 0, v[0:1]
	s_and_saveexec_b64 s[0:1], s[2:3]
	s_cbranch_execnz .LBB14_70
; %bb.49:
	s_or_b64 exec, exec, s[0:1]
	s_and_saveexec_b64 s[0:1], s[4:5]
	s_cbranch_execnz .LBB14_71
.LBB14_50:
	s_or_b64 exec, exec, s[0:1]
	s_and_saveexec_b64 s[0:1], s[10:11]
	s_cbranch_execnz .LBB14_72
.LBB14_51:
	s_or_b64 exec, exec, s[0:1]
	s_and_saveexec_b64 s[0:1], s[6:7]
	s_cbranch_execnz .LBB14_73
.LBB14_52:
	s_or_b64 exec, exec, s[0:1]
	s_and_saveexec_b64 s[0:1], s[44:45]
	s_cbranch_execnz .LBB14_74
.LBB14_53:
	s_or_b64 exec, exec, s[0:1]
	s_and_saveexec_b64 s[0:1], s[8:9]
	s_cbranch_execnz .LBB14_75
.LBB14_54:
	s_or_b64 exec, exec, s[0:1]
	s_and_saveexec_b64 s[0:1], s[12:13]
	s_cbranch_execnz .LBB14_76
.LBB14_55:
	s_or_b64 exec, exec, s[0:1]
	s_and_saveexec_b64 s[0:1], s[14:15]
	s_cbranch_execnz .LBB14_77
.LBB14_56:
	s_or_b64 exec, exec, s[0:1]
	s_and_saveexec_b64 s[0:1], s[16:17]
	s_cbranch_execnz .LBB14_78
.LBB14_57:
	s_or_b64 exec, exec, s[0:1]
	s_and_saveexec_b64 s[0:1], s[18:19]
	s_cbranch_execnz .LBB14_79
.LBB14_58:
	s_or_b64 exec, exec, s[0:1]
	s_and_saveexec_b64 s[0:1], s[20:21]
	s_cbranch_execnz .LBB14_80
.LBB14_59:
	s_or_b64 exec, exec, s[0:1]
	s_and_saveexec_b64 s[0:1], s[22:23]
	s_cbranch_execnz .LBB14_81
.LBB14_60:
	s_or_b64 exec, exec, s[0:1]
	s_and_saveexec_b64 s[0:1], s[24:25]
	s_cbranch_execnz .LBB14_82
.LBB14_61:
	s_or_b64 exec, exec, s[0:1]
	s_and_saveexec_b64 s[0:1], s[26:27]
	s_cbranch_execnz .LBB14_83
.LBB14_62:
	s_or_b64 exec, exec, s[0:1]
	s_and_saveexec_b64 s[0:1], s[28:29]
	s_cbranch_execnz .LBB14_84
.LBB14_63:
	s_or_b64 exec, exec, s[0:1]
	s_and_saveexec_b64 s[0:1], s[30:31]
	s_cbranch_execnz .LBB14_85
.LBB14_64:
	s_or_b64 exec, exec, s[0:1]
	s_and_saveexec_b64 s[0:1], s[34:35]
	s_cbranch_execnz .LBB14_86
.LBB14_65:
	s_or_b64 exec, exec, s[0:1]
	s_and_saveexec_b64 s[0:1], s[36:37]
	s_cbranch_execnz .LBB14_87
.LBB14_66:
	s_or_b64 exec, exec, s[0:1]
	s_and_saveexec_b64 s[0:1], s[38:39]
	s_cbranch_execnz .LBB14_88
.LBB14_67:
	s_or_b64 exec, exec, s[0:1]
	s_and_saveexec_b64 s[0:1], s[40:41]
	s_cbranch_execnz .LBB14_89
.LBB14_68:
	s_or_b64 exec, exec, s[0:1]
	s_and_saveexec_b64 s[0:1], s[42:43]
	s_cbranch_execnz .LBB14_90
.LBB14_69:
	s_endpgm
.LBB14_70:
	ds_read_b32 v2, v2
	s_waitcnt lgkmcnt(0)
	v_ashrrev_i32_e32 v3, 31, v2
	global_store_dwordx2 v[0:1], v[2:3], off
	s_or_b64 exec, exec, s[0:1]
	s_and_saveexec_b64 s[0:1], s[4:5]
	s_cbranch_execz .LBB14_50
.LBB14_71:
	s_waitcnt lgkmcnt(9)
	v_ashrrev_i32_e32 v3, 31, v22
	v_mov_b32_e32 v2, v22
	global_store_dwordx2 v[0:1], v[2:3], off offset:2048
	s_or_b64 exec, exec, s[0:1]
	s_and_saveexec_b64 s[0:1], s[10:11]
	s_cbranch_execz .LBB14_51
.LBB14_72:
	s_waitcnt lgkmcnt(9)
	v_add_co_u32_e32 v22, vcc, 0x1000, v0
	v_ashrrev_i32_e32 v3, 31, v23
	v_mov_b32_e32 v2, v23
	v_addc_co_u32_e32 v23, vcc, 0, v1, vcc
	global_store_dwordx2 v[22:23], v[2:3], off
	s_or_b64 exec, exec, s[0:1]
	s_and_saveexec_b64 s[0:1], s[6:7]
	s_cbranch_execz .LBB14_52
.LBB14_73:
	s_waitcnt lgkmcnt(9)
	v_add_co_u32_e32 v22, vcc, 0x1000, v0
	s_waitcnt lgkmcnt(8)
	v_ashrrev_i32_e32 v3, 31, v20
	v_mov_b32_e32 v2, v20
	v_addc_co_u32_e32 v23, vcc, 0, v1, vcc
	global_store_dwordx2 v[22:23], v[2:3], off offset:2048
	s_or_b64 exec, exec, s[0:1]
	s_and_saveexec_b64 s[0:1], s[44:45]
	s_cbranch_execz .LBB14_53
.LBB14_74:
	s_waitcnt lgkmcnt(8)
	v_add_co_u32_e32 v20, vcc, 0x2000, v0
	v_ashrrev_i32_e32 v3, 31, v21
	v_mov_b32_e32 v2, v21
	v_addc_co_u32_e32 v21, vcc, 0, v1, vcc
	global_store_dwordx2 v[20:21], v[2:3], off
	s_or_b64 exec, exec, s[0:1]
	s_and_saveexec_b64 s[0:1], s[8:9]
	s_cbranch_execz .LBB14_54
.LBB14_75:
	s_waitcnt lgkmcnt(8)
	v_add_co_u32_e32 v20, vcc, 0x2000, v0
	s_waitcnt lgkmcnt(7)
	v_ashrrev_i32_e32 v3, 31, v18
	v_mov_b32_e32 v2, v18
	v_addc_co_u32_e32 v21, vcc, 0, v1, vcc
	global_store_dwordx2 v[20:21], v[2:3], off offset:2048
	s_or_b64 exec, exec, s[0:1]
	s_and_saveexec_b64 s[0:1], s[12:13]
	s_cbranch_execz .LBB14_55
.LBB14_76:
	s_waitcnt lgkmcnt(7)
	v_add_co_u32_e32 v18, vcc, 0x3000, v0
	v_ashrrev_i32_e32 v3, 31, v19
	v_mov_b32_e32 v2, v19
	v_addc_co_u32_e32 v19, vcc, 0, v1, vcc
	global_store_dwordx2 v[18:19], v[2:3], off
	s_or_b64 exec, exec, s[0:1]
	s_and_saveexec_b64 s[0:1], s[14:15]
	s_cbranch_execz .LBB14_56
.LBB14_77:
	s_waitcnt lgkmcnt(7)
	v_add_co_u32_e32 v18, vcc, 0x3000, v0
	s_waitcnt lgkmcnt(6)
	v_ashrrev_i32_e32 v3, 31, v16
	v_mov_b32_e32 v2, v16
	v_addc_co_u32_e32 v19, vcc, 0, v1, vcc
	global_store_dwordx2 v[18:19], v[2:3], off offset:2048
	s_or_b64 exec, exec, s[0:1]
	s_and_saveexec_b64 s[0:1], s[16:17]
	s_cbranch_execz .LBB14_57
.LBB14_78:
	s_waitcnt lgkmcnt(6)
	v_add_co_u32_e32 v16, vcc, 0x4000, v0
	v_ashrrev_i32_e32 v3, 31, v17
	v_mov_b32_e32 v2, v17
	v_addc_co_u32_e32 v17, vcc, 0, v1, vcc
	global_store_dwordx2 v[16:17], v[2:3], off
	s_or_b64 exec, exec, s[0:1]
	s_and_saveexec_b64 s[0:1], s[18:19]
	s_cbranch_execz .LBB14_58
.LBB14_79:
	s_waitcnt lgkmcnt(6)
	v_add_co_u32_e32 v16, vcc, 0x4000, v0
	s_waitcnt lgkmcnt(5)
	v_ashrrev_i32_e32 v3, 31, v14
	v_mov_b32_e32 v2, v14
	v_addc_co_u32_e32 v17, vcc, 0, v1, vcc
	global_store_dwordx2 v[16:17], v[2:3], off offset:2048
	s_or_b64 exec, exec, s[0:1]
	s_and_saveexec_b64 s[0:1], s[20:21]
	s_cbranch_execz .LBB14_59
.LBB14_80:
	s_waitcnt lgkmcnt(5)
	v_add_co_u32_e32 v14, vcc, 0x5000, v0
	v_ashrrev_i32_e32 v3, 31, v15
	v_mov_b32_e32 v2, v15
	v_addc_co_u32_e32 v15, vcc, 0, v1, vcc
	global_store_dwordx2 v[14:15], v[2:3], off
	s_or_b64 exec, exec, s[0:1]
	s_and_saveexec_b64 s[0:1], s[22:23]
	s_cbranch_execz .LBB14_60
.LBB14_81:
	s_waitcnt lgkmcnt(5)
	v_add_co_u32_e32 v14, vcc, 0x5000, v0
	s_waitcnt lgkmcnt(4)
	v_ashrrev_i32_e32 v3, 31, v12
	v_mov_b32_e32 v2, v12
	v_addc_co_u32_e32 v15, vcc, 0, v1, vcc
	global_store_dwordx2 v[14:15], v[2:3], off offset:2048
	s_or_b64 exec, exec, s[0:1]
	s_and_saveexec_b64 s[0:1], s[24:25]
	s_cbranch_execz .LBB14_61
.LBB14_82:
	s_waitcnt lgkmcnt(4)
	v_add_co_u32_e32 v12, vcc, 0x6000, v0
	v_ashrrev_i32_e32 v3, 31, v13
	v_mov_b32_e32 v2, v13
	v_addc_co_u32_e32 v13, vcc, 0, v1, vcc
	global_store_dwordx2 v[12:13], v[2:3], off
	s_or_b64 exec, exec, s[0:1]
	s_and_saveexec_b64 s[0:1], s[26:27]
	s_cbranch_execz .LBB14_62
.LBB14_83:
	s_waitcnt lgkmcnt(4)
	v_add_co_u32_e32 v12, vcc, 0x6000, v0
	s_waitcnt lgkmcnt(3)
	v_ashrrev_i32_e32 v3, 31, v10
	v_mov_b32_e32 v2, v10
	v_addc_co_u32_e32 v13, vcc, 0, v1, vcc
	global_store_dwordx2 v[12:13], v[2:3], off offset:2048
	s_or_b64 exec, exec, s[0:1]
	s_and_saveexec_b64 s[0:1], s[28:29]
	s_cbranch_execz .LBB14_63
.LBB14_84:
	s_waitcnt lgkmcnt(3)
	v_add_co_u32_e32 v10, vcc, 0x7000, v0
	v_ashrrev_i32_e32 v3, 31, v11
	v_mov_b32_e32 v2, v11
	v_addc_co_u32_e32 v11, vcc, 0, v1, vcc
	global_store_dwordx2 v[10:11], v[2:3], off
	s_or_b64 exec, exec, s[0:1]
	s_and_saveexec_b64 s[0:1], s[30:31]
	s_cbranch_execz .LBB14_64
.LBB14_85:
	s_waitcnt lgkmcnt(3)
	v_add_co_u32_e32 v10, vcc, 0x7000, v0
	s_waitcnt lgkmcnt(2)
	v_ashrrev_i32_e32 v3, 31, v8
	v_mov_b32_e32 v2, v8
	v_addc_co_u32_e32 v11, vcc, 0, v1, vcc
	global_store_dwordx2 v[10:11], v[2:3], off offset:2048
	s_or_b64 exec, exec, s[0:1]
	s_and_saveexec_b64 s[0:1], s[34:35]
	s_cbranch_execz .LBB14_65
.LBB14_86:
	s_waitcnt lgkmcnt(2)
	v_add_co_u32_e32 v8, vcc, 0x8000, v0
	v_ashrrev_i32_e32 v3, 31, v9
	v_mov_b32_e32 v2, v9
	v_addc_co_u32_e32 v9, vcc, 0, v1, vcc
	global_store_dwordx2 v[8:9], v[2:3], off
	s_or_b64 exec, exec, s[0:1]
	s_and_saveexec_b64 s[0:1], s[36:37]
	s_cbranch_execz .LBB14_66
.LBB14_87:
	s_waitcnt lgkmcnt(2)
	v_add_co_u32_e32 v8, vcc, 0x8000, v0
	s_waitcnt lgkmcnt(1)
	v_ashrrev_i32_e32 v3, 31, v6
	v_mov_b32_e32 v2, v6
	v_addc_co_u32_e32 v9, vcc, 0, v1, vcc
	global_store_dwordx2 v[8:9], v[2:3], off offset:2048
	s_or_b64 exec, exec, s[0:1]
	s_and_saveexec_b64 s[0:1], s[38:39]
	s_cbranch_execz .LBB14_67
.LBB14_88:
	s_waitcnt lgkmcnt(1)
	v_add_co_u32_e32 v6, vcc, 0x9000, v0
	v_ashrrev_i32_e32 v3, 31, v7
	v_mov_b32_e32 v2, v7
	v_addc_co_u32_e32 v7, vcc, 0, v1, vcc
	global_store_dwordx2 v[6:7], v[2:3], off
	s_or_b64 exec, exec, s[0:1]
	s_and_saveexec_b64 s[0:1], s[40:41]
	s_cbranch_execz .LBB14_68
.LBB14_89:
	s_waitcnt lgkmcnt(1)
	v_add_co_u32_e32 v6, vcc, 0x9000, v0
	s_waitcnt lgkmcnt(0)
	v_ashrrev_i32_e32 v3, 31, v4
	v_mov_b32_e32 v2, v4
	v_addc_co_u32_e32 v7, vcc, 0, v1, vcc
	global_store_dwordx2 v[6:7], v[2:3], off offset:2048
	s_or_b64 exec, exec, s[0:1]
	s_and_saveexec_b64 s[0:1], s[42:43]
	s_cbranch_execz .LBB14_69
.LBB14_90:
	v_add_co_u32_e32 v0, vcc, 0xa000, v0
	s_waitcnt lgkmcnt(0)
	v_ashrrev_i32_e32 v3, 31, v5
	v_mov_b32_e32 v2, v5
	v_addc_co_u32_e32 v1, vcc, 0, v1, vcc
	global_store_dwordx2 v[0:1], v[2:3], off
	s_endpgm
	.section	.rodata,"a",@progbits
	.p2align	6, 0x0
	.amdhsa_kernel _ZN7rocprim17ROCPRIM_304000_NS6detail18single_scan_kernelILb0ENS1_19wrapped_scan_configINS0_14default_configEiEEPKiPlSt4plusIvEiiEEvT1_mT4_T2_T3_
		.amdhsa_group_segment_fixed_size 21504
		.amdhsa_private_segment_fixed_size 0
		.amdhsa_kernarg_size 36
		.amdhsa_user_sgpr_count 2
		.amdhsa_user_sgpr_dispatch_ptr 0
		.amdhsa_user_sgpr_queue_ptr 0
		.amdhsa_user_sgpr_kernarg_segment_ptr 1
		.amdhsa_user_sgpr_dispatch_id 0
		.amdhsa_user_sgpr_kernarg_preload_length 0
		.amdhsa_user_sgpr_kernarg_preload_offset 0
		.amdhsa_user_sgpr_private_segment_size 0
		.amdhsa_uses_dynamic_stack 0
		.amdhsa_enable_private_segment 0
		.amdhsa_system_sgpr_workgroup_id_x 1
		.amdhsa_system_sgpr_workgroup_id_y 0
		.amdhsa_system_sgpr_workgroup_id_z 0
		.amdhsa_system_sgpr_workgroup_info 0
		.amdhsa_system_vgpr_workitem_id 0
		.amdhsa_next_free_vgpr 29
		.amdhsa_next_free_sgpr 48
		.amdhsa_accum_offset 32
		.amdhsa_reserve_vcc 1
		.amdhsa_float_round_mode_32 0
		.amdhsa_float_round_mode_16_64 0
		.amdhsa_float_denorm_mode_32 3
		.amdhsa_float_denorm_mode_16_64 3
		.amdhsa_dx10_clamp 1
		.amdhsa_ieee_mode 1
		.amdhsa_fp16_overflow 0
		.amdhsa_tg_split 0
		.amdhsa_exception_fp_ieee_invalid_op 0
		.amdhsa_exception_fp_denorm_src 0
		.amdhsa_exception_fp_ieee_div_zero 0
		.amdhsa_exception_fp_ieee_overflow 0
		.amdhsa_exception_fp_ieee_underflow 0
		.amdhsa_exception_fp_ieee_inexact 0
		.amdhsa_exception_int_div_zero 0
	.end_amdhsa_kernel
	.section	.text._ZN7rocprim17ROCPRIM_304000_NS6detail18single_scan_kernelILb0ENS1_19wrapped_scan_configINS0_14default_configEiEEPKiPlSt4plusIvEiiEEvT1_mT4_T2_T3_,"axG",@progbits,_ZN7rocprim17ROCPRIM_304000_NS6detail18single_scan_kernelILb0ENS1_19wrapped_scan_configINS0_14default_configEiEEPKiPlSt4plusIvEiiEEvT1_mT4_T2_T3_,comdat
.Lfunc_end14:
	.size	_ZN7rocprim17ROCPRIM_304000_NS6detail18single_scan_kernelILb0ENS1_19wrapped_scan_configINS0_14default_configEiEEPKiPlSt4plusIvEiiEEvT1_mT4_T2_T3_, .Lfunc_end14-_ZN7rocprim17ROCPRIM_304000_NS6detail18single_scan_kernelILb0ENS1_19wrapped_scan_configINS0_14default_configEiEEPKiPlSt4plusIvEiiEEvT1_mT4_T2_T3_
                                        ; -- End function
	.section	.AMDGPU.csdata,"",@progbits
; Kernel info:
; codeLenInByte = 3352
; NumSgprs: 54
; NumVgprs: 29
; NumAgprs: 0
; TotalNumVgprs: 29
; ScratchSize: 0
; MemoryBound: 0
; FloatMode: 240
; IeeeMode: 1
; LDSByteSize: 21504 bytes/workgroup (compile time only)
; SGPRBlocks: 6
; VGPRBlocks: 3
; NumSGPRsForWavesPerEU: 54
; NumVGPRsForWavesPerEU: 29
; AccumOffset: 32
; Occupancy: 3
; WaveLimiterHint : 0
; COMPUTE_PGM_RSRC2:SCRATCH_EN: 0
; COMPUTE_PGM_RSRC2:USER_SGPR: 2
; COMPUTE_PGM_RSRC2:TRAP_HANDLER: 0
; COMPUTE_PGM_RSRC2:TGID_X_EN: 1
; COMPUTE_PGM_RSRC2:TGID_Y_EN: 0
; COMPUTE_PGM_RSRC2:TGID_Z_EN: 0
; COMPUTE_PGM_RSRC2:TIDIG_COMP_CNT: 0
; COMPUTE_PGM_RSRC3_GFX90A:ACCUM_OFFSET: 7
; COMPUTE_PGM_RSRC3_GFX90A:TG_SPLIT: 0
	.section	.text._ZN7rocprim17ROCPRIM_304000_NS6detail20lookback_scan_kernelILNS1_25lookback_scan_determinismE0ELb1ENS1_19wrapped_scan_configINS0_14default_configEiEEPKiPiN2at4cuda3cub12_GLOBAL__N_15SumOpIiEEiiNS1_19lookback_scan_stateIiLb1ELb1EEEEEvT2_T3_mT5_T4_T7_jPT6_SO_bb,"axG",@progbits,_ZN7rocprim17ROCPRIM_304000_NS6detail20lookback_scan_kernelILNS1_25lookback_scan_determinismE0ELb1ENS1_19wrapped_scan_configINS0_14default_configEiEEPKiPiN2at4cuda3cub12_GLOBAL__N_15SumOpIiEEiiNS1_19lookback_scan_stateIiLb1ELb1EEEEEvT2_T3_mT5_T4_T7_jPT6_SO_bb,comdat
	.globl	_ZN7rocprim17ROCPRIM_304000_NS6detail20lookback_scan_kernelILNS1_25lookback_scan_determinismE0ELb1ENS1_19wrapped_scan_configINS0_14default_configEiEEPKiPiN2at4cuda3cub12_GLOBAL__N_15SumOpIiEEiiNS1_19lookback_scan_stateIiLb1ELb1EEEEEvT2_T3_mT5_T4_T7_jPT6_SO_bb ; -- Begin function _ZN7rocprim17ROCPRIM_304000_NS6detail20lookback_scan_kernelILNS1_25lookback_scan_determinismE0ELb1ENS1_19wrapped_scan_configINS0_14default_configEiEEPKiPiN2at4cuda3cub12_GLOBAL__N_15SumOpIiEEiiNS1_19lookback_scan_stateIiLb1ELb1EEEEEvT2_T3_mT5_T4_T7_jPT6_SO_bb
	.p2align	8
	.type	_ZN7rocprim17ROCPRIM_304000_NS6detail20lookback_scan_kernelILNS1_25lookback_scan_determinismE0ELb1ENS1_19wrapped_scan_configINS0_14default_configEiEEPKiPiN2at4cuda3cub12_GLOBAL__N_15SumOpIiEEiiNS1_19lookback_scan_stateIiLb1ELb1EEEEEvT2_T3_mT5_T4_T7_jPT6_SO_bb,@function
_ZN7rocprim17ROCPRIM_304000_NS6detail20lookback_scan_kernelILNS1_25lookback_scan_determinismE0ELb1ENS1_19wrapped_scan_configINS0_14default_configEiEEPKiPiN2at4cuda3cub12_GLOBAL__N_15SumOpIiEEiiNS1_19lookback_scan_stateIiLb1ELb1EEEEEvT2_T3_mT5_T4_T7_jPT6_SO_bb: ; @_ZN7rocprim17ROCPRIM_304000_NS6detail20lookback_scan_kernelILNS1_25lookback_scan_determinismE0ELb1ENS1_19wrapped_scan_configINS0_14default_configEiEEPKiPiN2at4cuda3cub12_GLOBAL__N_15SumOpIiEEiiNS1_19lookback_scan_stateIiLb1ELb1EEEEEvT2_T3_mT5_T4_T7_jPT6_SO_bb
; %bb.0:
	s_endpgm
	.section	.rodata,"a",@progbits
	.p2align	6, 0x0
	.amdhsa_kernel _ZN7rocprim17ROCPRIM_304000_NS6detail20lookback_scan_kernelILNS1_25lookback_scan_determinismE0ELb1ENS1_19wrapped_scan_configINS0_14default_configEiEEPKiPiN2at4cuda3cub12_GLOBAL__N_15SumOpIiEEiiNS1_19lookback_scan_stateIiLb1ELb1EEEEEvT2_T3_mT5_T4_T7_jPT6_SO_bb
		.amdhsa_group_segment_fixed_size 0
		.amdhsa_private_segment_fixed_size 0
		.amdhsa_kernarg_size 68
		.amdhsa_user_sgpr_count 2
		.amdhsa_user_sgpr_dispatch_ptr 0
		.amdhsa_user_sgpr_queue_ptr 0
		.amdhsa_user_sgpr_kernarg_segment_ptr 1
		.amdhsa_user_sgpr_dispatch_id 0
		.amdhsa_user_sgpr_kernarg_preload_length 0
		.amdhsa_user_sgpr_kernarg_preload_offset 0
		.amdhsa_user_sgpr_private_segment_size 0
		.amdhsa_uses_dynamic_stack 0
		.amdhsa_enable_private_segment 0
		.amdhsa_system_sgpr_workgroup_id_x 1
		.amdhsa_system_sgpr_workgroup_id_y 0
		.amdhsa_system_sgpr_workgroup_id_z 0
		.amdhsa_system_sgpr_workgroup_info 0
		.amdhsa_system_vgpr_workitem_id 0
		.amdhsa_next_free_vgpr 1
		.amdhsa_next_free_sgpr 0
		.amdhsa_accum_offset 4
		.amdhsa_reserve_vcc 0
		.amdhsa_float_round_mode_32 0
		.amdhsa_float_round_mode_16_64 0
		.amdhsa_float_denorm_mode_32 3
		.amdhsa_float_denorm_mode_16_64 3
		.amdhsa_dx10_clamp 1
		.amdhsa_ieee_mode 1
		.amdhsa_fp16_overflow 0
		.amdhsa_tg_split 0
		.amdhsa_exception_fp_ieee_invalid_op 0
		.amdhsa_exception_fp_denorm_src 0
		.amdhsa_exception_fp_ieee_div_zero 0
		.amdhsa_exception_fp_ieee_overflow 0
		.amdhsa_exception_fp_ieee_underflow 0
		.amdhsa_exception_fp_ieee_inexact 0
		.amdhsa_exception_int_div_zero 0
	.end_amdhsa_kernel
	.section	.text._ZN7rocprim17ROCPRIM_304000_NS6detail20lookback_scan_kernelILNS1_25lookback_scan_determinismE0ELb1ENS1_19wrapped_scan_configINS0_14default_configEiEEPKiPiN2at4cuda3cub12_GLOBAL__N_15SumOpIiEEiiNS1_19lookback_scan_stateIiLb1ELb1EEEEEvT2_T3_mT5_T4_T7_jPT6_SO_bb,"axG",@progbits,_ZN7rocprim17ROCPRIM_304000_NS6detail20lookback_scan_kernelILNS1_25lookback_scan_determinismE0ELb1ENS1_19wrapped_scan_configINS0_14default_configEiEEPKiPiN2at4cuda3cub12_GLOBAL__N_15SumOpIiEEiiNS1_19lookback_scan_stateIiLb1ELb1EEEEEvT2_T3_mT5_T4_T7_jPT6_SO_bb,comdat
.Lfunc_end15:
	.size	_ZN7rocprim17ROCPRIM_304000_NS6detail20lookback_scan_kernelILNS1_25lookback_scan_determinismE0ELb1ENS1_19wrapped_scan_configINS0_14default_configEiEEPKiPiN2at4cuda3cub12_GLOBAL__N_15SumOpIiEEiiNS1_19lookback_scan_stateIiLb1ELb1EEEEEvT2_T3_mT5_T4_T7_jPT6_SO_bb, .Lfunc_end15-_ZN7rocprim17ROCPRIM_304000_NS6detail20lookback_scan_kernelILNS1_25lookback_scan_determinismE0ELb1ENS1_19wrapped_scan_configINS0_14default_configEiEEPKiPiN2at4cuda3cub12_GLOBAL__N_15SumOpIiEEiiNS1_19lookback_scan_stateIiLb1ELb1EEEEEvT2_T3_mT5_T4_T7_jPT6_SO_bb
                                        ; -- End function
	.section	.AMDGPU.csdata,"",@progbits
; Kernel info:
; codeLenInByte = 4
; NumSgprs: 6
; NumVgprs: 0
; NumAgprs: 0
; TotalNumVgprs: 0
; ScratchSize: 0
; MemoryBound: 0
; FloatMode: 240
; IeeeMode: 1
; LDSByteSize: 0 bytes/workgroup (compile time only)
; SGPRBlocks: 0
; VGPRBlocks: 0
; NumSGPRsForWavesPerEU: 6
; NumVGPRsForWavesPerEU: 1
; AccumOffset: 4
; Occupancy: 8
; WaveLimiterHint : 0
; COMPUTE_PGM_RSRC2:SCRATCH_EN: 0
; COMPUTE_PGM_RSRC2:USER_SGPR: 2
; COMPUTE_PGM_RSRC2:TRAP_HANDLER: 0
; COMPUTE_PGM_RSRC2:TGID_X_EN: 1
; COMPUTE_PGM_RSRC2:TGID_Y_EN: 0
; COMPUTE_PGM_RSRC2:TGID_Z_EN: 0
; COMPUTE_PGM_RSRC2:TIDIG_COMP_CNT: 0
; COMPUTE_PGM_RSRC3_GFX90A:ACCUM_OFFSET: 0
; COMPUTE_PGM_RSRC3_GFX90A:TG_SPLIT: 0
	.section	.text._ZN7rocprim17ROCPRIM_304000_NS6detail20lookback_scan_kernelILNS1_25lookback_scan_determinismE0ELb1ENS1_19wrapped_scan_configINS0_14default_configEiEEPKiPiN2at4cuda3cub12_GLOBAL__N_15SumOpIiEEiiNS1_19lookback_scan_stateIiLb0ELb1EEEEEvT2_T3_mT5_T4_T7_jPT6_SO_bb,"axG",@progbits,_ZN7rocprim17ROCPRIM_304000_NS6detail20lookback_scan_kernelILNS1_25lookback_scan_determinismE0ELb1ENS1_19wrapped_scan_configINS0_14default_configEiEEPKiPiN2at4cuda3cub12_GLOBAL__N_15SumOpIiEEiiNS1_19lookback_scan_stateIiLb0ELb1EEEEEvT2_T3_mT5_T4_T7_jPT6_SO_bb,comdat
	.globl	_ZN7rocprim17ROCPRIM_304000_NS6detail20lookback_scan_kernelILNS1_25lookback_scan_determinismE0ELb1ENS1_19wrapped_scan_configINS0_14default_configEiEEPKiPiN2at4cuda3cub12_GLOBAL__N_15SumOpIiEEiiNS1_19lookback_scan_stateIiLb0ELb1EEEEEvT2_T3_mT5_T4_T7_jPT6_SO_bb ; -- Begin function _ZN7rocprim17ROCPRIM_304000_NS6detail20lookback_scan_kernelILNS1_25lookback_scan_determinismE0ELb1ENS1_19wrapped_scan_configINS0_14default_configEiEEPKiPiN2at4cuda3cub12_GLOBAL__N_15SumOpIiEEiiNS1_19lookback_scan_stateIiLb0ELb1EEEEEvT2_T3_mT5_T4_T7_jPT6_SO_bb
	.p2align	8
	.type	_ZN7rocprim17ROCPRIM_304000_NS6detail20lookback_scan_kernelILNS1_25lookback_scan_determinismE0ELb1ENS1_19wrapped_scan_configINS0_14default_configEiEEPKiPiN2at4cuda3cub12_GLOBAL__N_15SumOpIiEEiiNS1_19lookback_scan_stateIiLb0ELb1EEEEEvT2_T3_mT5_T4_T7_jPT6_SO_bb,@function
_ZN7rocprim17ROCPRIM_304000_NS6detail20lookback_scan_kernelILNS1_25lookback_scan_determinismE0ELb1ENS1_19wrapped_scan_configINS0_14default_configEiEEPKiPiN2at4cuda3cub12_GLOBAL__N_15SumOpIiEEiiNS1_19lookback_scan_stateIiLb0ELb1EEEEEvT2_T3_mT5_T4_T7_jPT6_SO_bb: ; @_ZN7rocprim17ROCPRIM_304000_NS6detail20lookback_scan_kernelILNS1_25lookback_scan_determinismE0ELb1ENS1_19wrapped_scan_configINS0_14default_configEiEEPKiPiN2at4cuda3cub12_GLOBAL__N_15SumOpIiEEiiNS1_19lookback_scan_stateIiLb0ELb1EEEEEvT2_T3_mT5_T4_T7_jPT6_SO_bb
; %bb.0:
	s_load_dword s3, s[0:1], 0x28
	s_load_dwordx4 s[8:11], s[0:1], 0x0
	s_load_dwordx2 s[4:5], s[0:1], 0x10
	s_mul_i32 s6, s2, 0x1500
	s_mov_b32 s7, 0
	s_waitcnt lgkmcnt(0)
	s_add_i32 s3, s3, -1
	s_mul_i32 s12, s3, 0x1500
	s_sub_u32 s22, s4, s12
	s_subb_u32 s23, s5, 0
	s_cmp_lg_u32 s2, s3
	s_cselect_b64 s[12:13], -1, 0
	s_lshl_b64 s[14:15], s[6:7], 2
	s_add_u32 s6, s8, s14
	s_addc_u32 s7, s9, s15
	s_mov_b64 s[4:5], -1
	s_and_b64 vcc, exec, s[12:13]
	v_lshlrev_b32_e32 v2, 2, v0
	s_cbranch_vccz .LBB16_2
; %bb.1:
	v_mov_b32_e32 v3, 0
	v_lshl_add_u64 v[4:5], s[6:7], 0, v[2:3]
	v_add_co_u32_e32 v6, vcc, 0x1000, v4
	global_load_dword v1, v2, s[6:7]
	global_load_dword v3, v2, s[6:7] offset:1024
	global_load_dword v10, v2, s[6:7] offset:2048
	;; [unrolled: 1-line block ×3, first 2 shown]
	v_addc_co_u32_e32 v7, vcc, 0, v5, vcc
	v_add_co_u32_e32 v8, vcc, 0x2000, v4
	s_mov_b64 s[4:5], 0
	s_nop 0
	v_addc_co_u32_e32 v9, vcc, 0, v5, vcc
	global_load_dword v12, v[6:7], off
	global_load_dword v13, v[6:7], off offset:1024
	global_load_dword v14, v[6:7], off offset:2048
	;; [unrolled: 1-line block ×3, first 2 shown]
	global_load_dword v16, v[8:9], off
	global_load_dword v17, v[8:9], off offset:1024
	global_load_dword v18, v[8:9], off offset:2048
	;; [unrolled: 1-line block ×3, first 2 shown]
	v_add_co_u32_e32 v6, vcc, 0x3000, v4
	s_nop 1
	v_addc_co_u32_e32 v7, vcc, 0, v5, vcc
	v_add_co_u32_e32 v8, vcc, 0x4000, v4
	s_nop 1
	v_addc_co_u32_e32 v9, vcc, 0, v5, vcc
	global_load_dword v20, v[6:7], off
	global_load_dword v21, v[6:7], off offset:1024
	global_load_dword v22, v[6:7], off offset:2048
	;; [unrolled: 1-line block ×3, first 2 shown]
	global_load_dword v24, v[8:9], off
	global_load_dword v25, v[8:9], off offset:1024
	global_load_dword v26, v[8:9], off offset:2048
	;; [unrolled: 1-line block ×3, first 2 shown]
	v_add_co_u32_e32 v4, vcc, 0x5000, v4
	s_nop 1
	v_addc_co_u32_e32 v5, vcc, 0, v5, vcc
	global_load_dword v4, v[4:5], off
	s_waitcnt vmcnt(19)
	ds_write2st64_b32 v2, v1, v3 offset1:4
	s_waitcnt vmcnt(17)
	ds_write2st64_b32 v2, v10, v11 offset0:8 offset1:12
	s_waitcnt vmcnt(15)
	ds_write2st64_b32 v2, v12, v13 offset0:16 offset1:20
	;; [unrolled: 2-line block ×9, first 2 shown]
	s_waitcnt vmcnt(0)
	ds_write_b32 v2, v4 offset:20480
	s_waitcnt lgkmcnt(0)
	s_barrier
.LBB16_2:
	s_andn2_b64 vcc, exec, s[4:5]
	v_cmp_gt_u32_e64 s[4:5], s22, v0
	s_cbranch_vccnz .LBB16_46
; %bb.3:
	s_load_dword s3, s[6:7], 0x0
	v_mov_b32_e32 v3, 0
	v_lshl_add_u64 v[4:5], s[6:7], 0, v[2:3]
	s_waitcnt lgkmcnt(0)
	v_mov_b32_e32 v1, s3
	s_and_saveexec_b64 s[6:7], s[4:5]
	s_cbranch_execz .LBB16_5
; %bb.4:
	global_load_dword v1, v[4:5], off
.LBB16_5:
	s_or_b64 exec, exec, s[6:7]
	v_or_b32_e32 v3, 0x100, v0
	v_cmp_gt_u32_e32 vcc, s22, v3
	v_mov_b32_e32 v3, s3
	s_and_saveexec_b64 s[4:5], vcc
	s_cbranch_execz .LBB16_7
; %bb.6:
	global_load_dword v3, v[4:5], off offset:1024
.LBB16_7:
	s_or_b64 exec, exec, s[4:5]
	v_or_b32_e32 v6, 0x200, v0
	v_cmp_gt_u32_e32 vcc, s22, v6
	v_mov_b32_e32 v6, s3
	s_and_saveexec_b64 s[4:5], vcc
	s_cbranch_execz .LBB16_9
; %bb.8:
	global_load_dword v6, v[4:5], off offset:2048
.LBB16_9:
	;; [unrolled: 9-line block ×3, first 2 shown]
	s_or_b64 exec, exec, s[4:5]
	v_or_b32_e32 v8, 0x400, v0
	v_cmp_gt_u32_e32 vcc, s22, v8
	v_mov_b32_e32 v8, s3
	s_and_saveexec_b64 s[4:5], vcc
	s_cbranch_execz .LBB16_13
; %bb.12:
	v_add_co_u32_e32 v8, vcc, 0x1000, v4
	s_nop 1
	v_addc_co_u32_e32 v9, vcc, 0, v5, vcc
	global_load_dword v8, v[8:9], off
.LBB16_13:
	s_or_b64 exec, exec, s[4:5]
	v_or_b32_e32 v9, 0x500, v0
	v_cmp_gt_u32_e32 vcc, s22, v9
	v_mov_b32_e32 v9, s3
	s_and_saveexec_b64 s[4:5], vcc
	s_cbranch_execz .LBB16_15
; %bb.14:
	v_add_co_u32_e32 v10, vcc, 0x1000, v4
	s_nop 1
	v_addc_co_u32_e32 v11, vcc, 0, v5, vcc
	global_load_dword v9, v[10:11], off offset:1024
.LBB16_15:
	s_or_b64 exec, exec, s[4:5]
	v_or_b32_e32 v10, 0x600, v0
	v_cmp_gt_u32_e32 vcc, s22, v10
	v_mov_b32_e32 v10, s3
	s_and_saveexec_b64 s[4:5], vcc
	s_cbranch_execz .LBB16_17
; %bb.16:
	v_add_co_u32_e32 v10, vcc, 0x1000, v4
	s_nop 1
	v_addc_co_u32_e32 v11, vcc, 0, v5, vcc
	global_load_dword v10, v[10:11], off offset:2048
.LBB16_17:
	s_or_b64 exec, exec, s[4:5]
	v_or_b32_e32 v11, 0x700, v0
	v_cmp_gt_u32_e32 vcc, s22, v11
	v_mov_b32_e32 v11, s3
	s_and_saveexec_b64 s[4:5], vcc
	s_cbranch_execz .LBB16_19
; %bb.18:
	v_add_co_u32_e32 v12, vcc, 0x1000, v4
	s_nop 1
	v_addc_co_u32_e32 v13, vcc, 0, v5, vcc
	global_load_dword v11, v[12:13], off offset:3072
.LBB16_19:
	s_or_b64 exec, exec, s[4:5]
	v_or_b32_e32 v12, 0x800, v0
	v_cmp_gt_u32_e32 vcc, s22, v12
	v_mov_b32_e32 v12, s3
	s_and_saveexec_b64 s[4:5], vcc
	s_cbranch_execz .LBB16_21
; %bb.20:
	v_add_co_u32_e32 v12, vcc, 0x2000, v4
	s_nop 1
	v_addc_co_u32_e32 v13, vcc, 0, v5, vcc
	global_load_dword v12, v[12:13], off
.LBB16_21:
	s_or_b64 exec, exec, s[4:5]
	v_or_b32_e32 v13, 0x900, v0
	v_cmp_gt_u32_e32 vcc, s22, v13
	v_mov_b32_e32 v13, s3
	s_and_saveexec_b64 s[4:5], vcc
	s_cbranch_execz .LBB16_23
; %bb.22:
	v_add_co_u32_e32 v14, vcc, 0x2000, v4
	s_nop 1
	v_addc_co_u32_e32 v15, vcc, 0, v5, vcc
	global_load_dword v13, v[14:15], off offset:1024
.LBB16_23:
	s_or_b64 exec, exec, s[4:5]
	v_or_b32_e32 v14, 0xa00, v0
	v_cmp_gt_u32_e32 vcc, s22, v14
	v_mov_b32_e32 v14, s3
	s_and_saveexec_b64 s[4:5], vcc
	s_cbranch_execz .LBB16_25
; %bb.24:
	v_add_co_u32_e32 v14, vcc, 0x2000, v4
	s_nop 1
	v_addc_co_u32_e32 v15, vcc, 0, v5, vcc
	global_load_dword v14, v[14:15], off offset:2048
.LBB16_25:
	s_or_b64 exec, exec, s[4:5]
	v_or_b32_e32 v15, 0xb00, v0
	v_cmp_gt_u32_e32 vcc, s22, v15
	v_mov_b32_e32 v15, s3
	s_and_saveexec_b64 s[4:5], vcc
	s_cbranch_execz .LBB16_27
; %bb.26:
	v_add_co_u32_e32 v16, vcc, 0x2000, v4
	s_nop 1
	v_addc_co_u32_e32 v17, vcc, 0, v5, vcc
	global_load_dword v15, v[16:17], off offset:3072
.LBB16_27:
	;; [unrolled: 48-line block ×4, first 2 shown]
	s_or_b64 exec, exec, s[4:5]
	v_or_b32_e32 v24, 0x1400, v0
	v_cmp_gt_u32_e32 vcc, s22, v24
	v_mov_b32_e32 v24, s3
	s_and_saveexec_b64 s[4:5], vcc
	s_cbranch_execz .LBB16_45
; %bb.44:
	v_add_co_u32_e32 v4, vcc, 0x5000, v4
	s_nop 1
	v_addc_co_u32_e32 v5, vcc, 0, v5, vcc
	global_load_dword v24, v[4:5], off
.LBB16_45:
	s_or_b64 exec, exec, s[4:5]
	s_waitcnt vmcnt(0)
	ds_write2st64_b32 v2, v1, v3 offset1:4
	ds_write2st64_b32 v2, v6, v7 offset0:8 offset1:12
	ds_write2st64_b32 v2, v8, v9 offset0:16 offset1:20
	;; [unrolled: 1-line block ×9, first 2 shown]
	ds_write_b32 v2, v24 offset:20480
	s_waitcnt lgkmcnt(0)
	s_barrier
.LBB16_46:
	s_load_dwordx2 s[16:17], s[0:1], 0x20
	v_mul_u32_u24_e32 v34, 21, v0
	v_lshlrev_b32_e32 v1, 2, v34
	s_waitcnt lgkmcnt(0)
	ds_read2_b32 v[22:23], v1 offset1:1
	ds_read2_b32 v[20:21], v1 offset0:2 offset1:3
	ds_read2_b32 v[18:19], v1 offset0:4 offset1:5
	;; [unrolled: 1-line block ×9, first 2 shown]
	ds_read_b32 v35, v1 offset:80
	s_waitcnt lgkmcnt(9)
	v_add3_u32 v1, v23, v22, v20
	s_cmp_lg_u32 s2, 0
	s_waitcnt lgkmcnt(8)
	v_add3_u32 v37, v1, v21, v18
	v_mbcnt_lo_u32_b32 v36, -1, 0
	v_lshrrev_b32_e32 v1, 6, v0
	v_or_b32_e32 v3, 63, v0
	s_waitcnt lgkmcnt(0)
	s_barrier
	s_cbranch_scc0 .LBB16_73
; %bb.47:
	v_add3_u32 v24, v37, v19, v16
	v_add3_u32 v24, v24, v17, v14
	v_add3_u32 v24, v24, v15, v12
	v_add3_u32 v24, v24, v13, v10
	v_add3_u32 v24, v24, v11, v8
	v_add3_u32 v24, v24, v9, v6
	v_add3_u32 v24, v24, v7, v4
	v_mbcnt_hi_u32_b32 v27, -1, v36
	v_add3_u32 v24, v24, v5, v35
	v_and_b32_e32 v25, 15, v27
	v_cmp_ne_u32_e32 vcc, 0, v25
	v_mov_b32_dpp v26, v24 row_shr:1 row_mask:0xf bank_mask:0xf
	s_nop 0
	v_cndmask_b32_e32 v26, 0, v26, vcc
	v_add_u32_e32 v24, v26, v24
	v_cmp_lt_u32_e32 vcc, 1, v25
	s_nop 0
	v_mov_b32_dpp v26, v24 row_shr:2 row_mask:0xf bank_mask:0xf
	v_cndmask_b32_e32 v26, 0, v26, vcc
	v_add_u32_e32 v24, v24, v26
	v_cmp_lt_u32_e32 vcc, 3, v25
	s_nop 0
	v_mov_b32_dpp v26, v24 row_shr:4 row_mask:0xf bank_mask:0xf
	;; [unrolled: 5-line block ×3, first 2 shown]
	v_cndmask_b32_e32 v25, 0, v26, vcc
	v_add_u32_e32 v24, v24, v25
	v_bfe_i32 v26, v27, 4, 1
	v_cmp_lt_u32_e32 vcc, 31, v27
	v_mov_b32_dpp v25, v24 row_bcast:15 row_mask:0xf bank_mask:0xf
	v_and_b32_e32 v25, v26, v25
	v_add_u32_e32 v24, v24, v25
	s_nop 1
	v_mov_b32_dpp v25, v24 row_bcast:31 row_mask:0xf bank_mask:0xf
	v_cndmask_b32_e32 v25, 0, v25, vcc
	v_add_u32_e32 v24, v24, v25
	v_cmp_eq_u32_e32 vcc, v3, v0
	s_and_saveexec_b64 s[4:5], vcc
	s_cbranch_execz .LBB16_49
; %bb.48:
	v_lshlrev_b32_e32 v25, 2, v1
	ds_write_b32 v25, v24
.LBB16_49:
	s_or_b64 exec, exec, s[4:5]
	v_cmp_gt_u32_e32 vcc, 4, v0
	s_waitcnt lgkmcnt(0)
	s_barrier
	s_and_saveexec_b64 s[4:5], vcc
	s_cbranch_execz .LBB16_51
; %bb.50:
	ds_read_b32 v25, v2
	v_and_b32_e32 v26, 3, v27
	v_cmp_ne_u32_e32 vcc, 0, v26
	s_waitcnt lgkmcnt(0)
	v_mov_b32_dpp v28, v25 row_shr:1 row_mask:0xf bank_mask:0xf
	v_cndmask_b32_e32 v28, 0, v28, vcc
	v_add_u32_e32 v25, v28, v25
	v_cmp_lt_u32_e32 vcc, 1, v26
	s_nop 0
	v_mov_b32_dpp v28, v25 row_shr:2 row_mask:0xf bank_mask:0xf
	v_cndmask_b32_e32 v26, 0, v28, vcc
	v_add_u32_e32 v25, v25, v26
	ds_write_b32 v2, v25
.LBB16_51:
	s_or_b64 exec, exec, s[4:5]
	v_cmp_gt_u32_e32 vcc, 64, v0
	v_cmp_lt_u32_e64 s[4:5], 63, v0
	s_waitcnt lgkmcnt(0)
	s_barrier
	s_waitcnt lgkmcnt(0)
                                        ; implicit-def: $vgpr38
	s_and_saveexec_b64 s[6:7], s[4:5]
	s_cbranch_execz .LBB16_53
; %bb.52:
	v_lshl_add_u32 v25, v1, 2, -4
	ds_read_b32 v38, v25
	s_waitcnt lgkmcnt(0)
	v_add_u32_e32 v24, v38, v24
.LBB16_53:
	s_or_b64 exec, exec, s[6:7]
	v_add_u32_e32 v25, -1, v27
	v_and_b32_e32 v26, 64, v27
	v_cmp_lt_i32_e64 s[4:5], v25, v26
	s_nop 1
	v_cndmask_b32_e64 v25, v25, v27, s[4:5]
	v_lshlrev_b32_e32 v25, 2, v25
	ds_bpermute_b32 v39, v25, v24
	v_cmp_eq_u32_e64 s[4:5], 0, v27
	s_and_saveexec_b64 s[6:7], vcc
	s_cbranch_execz .LBB16_72
; %bb.54:
	v_mov_b32_e32 v31, 0
	ds_read_b32 v24, v31 offset:12
	s_and_saveexec_b64 s[18:19], s[4:5]
	s_cbranch_execz .LBB16_56
; %bb.55:
	s_add_i32 s20, s2, 64
	s_mov_b32 s21, 0
	s_lshl_b64 s[20:21], s[20:21], 3
	s_add_u32 s20, s16, s20
	s_addc_u32 s21, s17, s21
	v_mov_b32_e32 v25, 1
	s_waitcnt lgkmcnt(0)
	global_store_dwordx2 v31, v[24:25], s[20:21] sc1
.LBB16_56:
	s_or_b64 exec, exec, s[18:19]
	v_xad_u32 v26, v27, -1, s2
	v_add_u32_e32 v30, 64, v26
	v_lshl_add_u64 v[32:33], v[30:31], 3, s[16:17]
	global_load_dwordx2 v[28:29], v[32:33], off sc1
	s_waitcnt vmcnt(0)
	v_cmp_eq_u16_sdwa s[20:21], v29, v31 src0_sel:BYTE_0 src1_sel:DWORD
	s_and_saveexec_b64 s[18:19], s[20:21]
	s_cbranch_execz .LBB16_60
; %bb.57:
	s_mov_b64 s[20:21], 0
	v_mov_b32_e32 v25, 0
.LBB16_58:                              ; =>This Inner Loop Header: Depth=1
	global_load_dwordx2 v[28:29], v[32:33], off sc1
	s_waitcnt vmcnt(0)
	v_cmp_ne_u16_sdwa s[24:25], v29, v25 src0_sel:BYTE_0 src1_sel:DWORD
	s_or_b64 s[20:21], s[24:25], s[20:21]
	s_andn2_b64 exec, exec, s[20:21]
	s_cbranch_execnz .LBB16_58
; %bb.59:
	s_or_b64 exec, exec, s[20:21]
.LBB16_60:
	s_or_b64 exec, exec, s[18:19]
	v_and_b32_e32 v48, 63, v27
	v_mov_b32_e32 v25, 2
	v_cmp_ne_u32_e32 vcc, 63, v48
	v_cmp_eq_u16_sdwa s[18:19], v29, v25 src0_sel:BYTE_0 src1_sel:DWORD
	v_lshlrev_b64 v[30:31], v27, -1
	v_addc_co_u32_e32 v40, vcc, 0, v27, vcc
	v_and_b32_e32 v32, s19, v31
	v_lshlrev_b32_e32 v40, 2, v40
	v_or_b32_e32 v32, 0x80000000, v32
	ds_bpermute_b32 v42, v40, v28
	v_and_b32_e32 v33, s18, v30
	v_ffbl_b32_e32 v32, v32
	v_add_u32_e32 v32, 32, v32
	v_ffbl_b32_e32 v33, v33
	v_min_u32_e32 v32, v33, v32
	v_add_u32_e32 v41, 1, v27
	v_cmp_le_u32_e32 vcc, v41, v32
	v_add_u32_e32 v43, 2, v27
	v_add_u32_e32 v45, 4, v27
	s_waitcnt lgkmcnt(0)
	v_cndmask_b32_e32 v33, 0, v42, vcc
	v_cmp_gt_u32_e32 vcc, 62, v48
	v_add_u32_e32 v28, v33, v28
	v_add_u32_e32 v47, 8, v27
	v_cndmask_b32_e64 v33, 0, 1, vcc
	v_lshlrev_b32_e32 v33, 1, v33
	v_add_lshl_u32 v42, v33, v27, 2
	ds_bpermute_b32 v33, v42, v28
	v_cmp_le_u32_e32 vcc, v43, v32
	v_add_u32_e32 v50, 16, v27
	v_add_u32_e32 v52, 32, v27
	s_waitcnt lgkmcnt(0)
	v_cndmask_b32_e32 v33, 0, v33, vcc
	v_cmp_gt_u32_e32 vcc, 60, v48
	v_add_u32_e32 v28, v28, v33
	s_nop 0
	v_cndmask_b32_e64 v33, 0, 1, vcc
	v_lshlrev_b32_e32 v33, 2, v33
	v_add_lshl_u32 v44, v33, v27, 2
	ds_bpermute_b32 v33, v44, v28
	v_cmp_le_u32_e32 vcc, v45, v32
	s_waitcnt lgkmcnt(0)
	s_nop 0
	v_cndmask_b32_e32 v33, 0, v33, vcc
	v_cmp_gt_u32_e32 vcc, 56, v48
	v_add_u32_e32 v28, v28, v33
	s_nop 0
	v_cndmask_b32_e64 v33, 0, 1, vcc
	v_lshlrev_b32_e32 v33, 3, v33
	v_add_lshl_u32 v46, v33, v27, 2
	ds_bpermute_b32 v33, v46, v28
	v_cmp_le_u32_e32 vcc, v47, v32
	s_waitcnt lgkmcnt(0)
	s_nop 0
	;; [unrolled: 11-line block ×4, first 2 shown]
	v_cndmask_b32_e32 v27, 0, v33, vcc
	v_add_u32_e32 v28, v28, v27
	v_mov_b32_e32 v27, 0
	s_branch .LBB16_62
.LBB16_61:                              ;   in Loop: Header=BB16_62 Depth=1
	s_or_b64 exec, exec, s[18:19]
	v_cmp_eq_u16_sdwa s[18:19], v29, v25 src0_sel:BYTE_0 src1_sel:DWORD
	ds_bpermute_b32 v53, v40, v28
	v_subrev_u32_e32 v26, 64, v26
	v_and_b32_e32 v32, s19, v31
	v_or_b32_e32 v32, 0x80000000, v32
	v_and_b32_e32 v33, s18, v30
	v_ffbl_b32_e32 v32, v32
	v_add_u32_e32 v32, 32, v32
	v_ffbl_b32_e32 v33, v33
	v_min_u32_e32 v32, v33, v32
	v_cmp_le_u32_e32 vcc, v41, v32
	s_waitcnt lgkmcnt(0)
	s_nop 0
	v_cndmask_b32_e32 v33, 0, v53, vcc
	v_add_u32_e32 v28, v33, v28
	ds_bpermute_b32 v33, v42, v28
	v_cmp_le_u32_e32 vcc, v43, v32
	s_waitcnt lgkmcnt(0)
	s_nop 0
	v_cndmask_b32_e32 v33, 0, v33, vcc
	v_add_u32_e32 v28, v28, v33
	ds_bpermute_b32 v33, v44, v28
	;; [unrolled: 6-line block ×5, first 2 shown]
	v_cmp_le_u32_e32 vcc, v52, v32
	s_waitcnt lgkmcnt(0)
	s_nop 0
	v_cndmask_b32_e32 v32, 0, v33, vcc
	v_add3_u32 v28, v32, v48, v28
.LBB16_62:                              ; =>This Loop Header: Depth=1
                                        ;     Child Loop BB16_65 Depth 2
	v_cmp_ne_u16_sdwa s[18:19], v29, v25 src0_sel:BYTE_0 src1_sel:DWORD
	v_mov_b32_e32 v48, v28
	s_nop 0
	v_cndmask_b32_e64 v29, 0, 1, s[18:19]
	;;#ASMSTART
	;;#ASMEND
	s_nop 0
	v_cmp_ne_u32_e32 vcc, 0, v29
	s_cmp_lg_u64 vcc, exec
	s_cbranch_scc1 .LBB16_67
; %bb.63:                               ;   in Loop: Header=BB16_62 Depth=1
	v_lshl_add_u64 v[32:33], v[26:27], 3, s[16:17]
	global_load_dwordx2 v[28:29], v[32:33], off sc1
	s_waitcnt vmcnt(0)
	v_cmp_eq_u16_sdwa s[20:21], v29, v27 src0_sel:BYTE_0 src1_sel:DWORD
	s_and_saveexec_b64 s[18:19], s[20:21]
	s_cbranch_execz .LBB16_61
; %bb.64:                               ;   in Loop: Header=BB16_62 Depth=1
	s_mov_b64 s[20:21], 0
.LBB16_65:                              ;   Parent Loop BB16_62 Depth=1
                                        ; =>  This Inner Loop Header: Depth=2
	global_load_dwordx2 v[28:29], v[32:33], off sc1
	s_waitcnt vmcnt(0)
	v_cmp_ne_u16_sdwa s[24:25], v29, v27 src0_sel:BYTE_0 src1_sel:DWORD
	s_or_b64 s[20:21], s[24:25], s[20:21]
	s_andn2_b64 exec, exec, s[20:21]
	s_cbranch_execnz .LBB16_65
; %bb.66:                               ;   in Loop: Header=BB16_62 Depth=1
	s_or_b64 exec, exec, s[20:21]
	s_branch .LBB16_61
.LBB16_67:                              ;   in Loop: Header=BB16_62 Depth=1
                                        ; implicit-def: $vgpr28
                                        ; implicit-def: $vgpr29
	s_cbranch_execz .LBB16_62
; %bb.68:
	s_and_saveexec_b64 s[18:19], s[4:5]
	s_cbranch_execz .LBB16_70
; %bb.69:
	s_add_i32 s2, s2, 64
	s_mov_b32 s3, 0
	s_lshl_b64 s[2:3], s[2:3], 3
	s_add_u32 s2, s16, s2
	s_addc_u32 s3, s17, s3
	v_mov_b32_e32 v26, 0
	v_add_u32_e32 v24, v48, v24
	v_mov_b32_e32 v25, 2
	global_store_dwordx2 v26, v[24:25], s[2:3] sc1
.LBB16_70:
	s_or_b64 exec, exec, s[18:19]
	v_cmp_eq_u32_e32 vcc, 0, v0
	s_and_b64 exec, exec, vcc
	s_cbranch_execz .LBB16_72
; %bb.71:
	v_mov_b32_e32 v24, 0
	ds_write_b32 v24, v48 offset:12
.LBB16_72:
	s_or_b64 exec, exec, s[6:7]
	v_mov_b32_e32 v24, 0
	s_waitcnt lgkmcnt(0)
	s_barrier
	ds_read_b32 v24, v24 offset:12
	v_cndmask_b32_e64 v25, v39, v38, s[4:5]
	v_cmp_ne_u32_e32 vcc, 0, v0
	s_nop 1
	v_cndmask_b32_e32 v25, 0, v25, vcc
	s_waitcnt lgkmcnt(0)
	v_add_u32_e32 v24, v24, v25
	s_load_dwordx4 s[4:7], s[0:1], 0x30
	s_branch .LBB16_86
.LBB16_73:
                                        ; implicit-def: $vgpr24
	s_load_dwordx4 s[4:7], s[0:1], 0x30
	s_cbranch_execz .LBB16_86
; %bb.74:
	s_load_dword s2, s[0:1], 0x40
	s_waitcnt lgkmcnt(0)
	s_bitcmp0_b32 s2, 0
	s_cbranch_scc1 .LBB16_76
; %bb.75:
	s_add_u32 s2, s8, -4
	s_addc_u32 s3, s9, -1
	s_load_dword s8, s[4:5], 0x0
	s_load_dword s9, s[2:3], 0x0
	s_waitcnt lgkmcnt(0)
	s_add_i32 s4, s9, s8
	s_branch .LBB16_77
.LBB16_76:
	s_load_dword s4, s[0:1], 0x18
.LBB16_77:
	v_add3_u32 v24, v37, v19, v16
	v_add3_u32 v24, v24, v17, v14
	;; [unrolled: 1-line block ×8, first 2 shown]
	v_mbcnt_hi_u32_b32 v24, -1, v36
	v_and_b32_e32 v26, 15, v24
	v_mov_b32_dpp v27, v25 row_shr:1 row_mask:0xf bank_mask:0xf
	v_cmp_ne_u32_e32 vcc, 0, v26
	s_nop 1
	v_cndmask_b32_e32 v27, 0, v27, vcc
	v_add_u32_e32 v25, v27, v25
	v_cmp_lt_u32_e32 vcc, 1, v26
	s_nop 0
	v_mov_b32_dpp v27, v25 row_shr:2 row_mask:0xf bank_mask:0xf
	v_cndmask_b32_e32 v27, 0, v27, vcc
	v_add_u32_e32 v25, v25, v27
	v_cmp_lt_u32_e32 vcc, 3, v26
	s_nop 0
	v_mov_b32_dpp v27, v25 row_shr:4 row_mask:0xf bank_mask:0xf
	;; [unrolled: 5-line block ×3, first 2 shown]
	v_cndmask_b32_e32 v26, 0, v27, vcc
	v_add_u32_e32 v25, v25, v26
	v_bfe_i32 v27, v24, 4, 1
	v_cmp_lt_u32_e32 vcc, 31, v24
	v_mov_b32_dpp v26, v25 row_bcast:15 row_mask:0xf bank_mask:0xf
	v_and_b32_e32 v26, v27, v26
	v_add_u32_e32 v25, v25, v26
	s_nop 1
	v_mov_b32_dpp v26, v25 row_bcast:31 row_mask:0xf bank_mask:0xf
	v_cndmask_b32_e32 v26, 0, v26, vcc
	v_add_u32_e32 v25, v25, v26
	v_cmp_eq_u32_e32 vcc, v3, v0
	s_and_saveexec_b64 s[2:3], vcc
	s_cbranch_execz .LBB16_79
; %bb.78:
	v_lshlrev_b32_e32 v3, 2, v1
	ds_write_b32 v3, v25
.LBB16_79:
	s_or_b64 exec, exec, s[2:3]
	v_cmp_gt_u32_e32 vcc, 4, v0
	s_waitcnt lgkmcnt(0)
	s_barrier
	s_and_saveexec_b64 s[2:3], vcc
	s_cbranch_execz .LBB16_81
; %bb.80:
	ds_read_b32 v3, v2
	v_and_b32_e32 v26, 3, v24
	v_cmp_ne_u32_e32 vcc, 0, v26
	s_waitcnt lgkmcnt(0)
	v_mov_b32_dpp v27, v3 row_shr:1 row_mask:0xf bank_mask:0xf
	v_cndmask_b32_e32 v27, 0, v27, vcc
	v_add_u32_e32 v3, v27, v3
	v_cmp_lt_u32_e32 vcc, 1, v26
	s_nop 0
	v_mov_b32_dpp v27, v3 row_shr:2 row_mask:0xf bank_mask:0xf
	v_cndmask_b32_e32 v26, 0, v27, vcc
	v_add_u32_e32 v3, v3, v26
	ds_write_b32 v2, v3
.LBB16_81:
	s_or_b64 exec, exec, s[2:3]
	v_cmp_lt_u32_e32 vcc, 63, v0
	v_mov_b32_e32 v3, s4
	s_waitcnt lgkmcnt(0)
	s_barrier
	s_and_saveexec_b64 s[2:3], vcc
	s_cbranch_execz .LBB16_83
; %bb.82:
	v_lshl_add_u32 v1, v1, 2, -4
	ds_read_b32 v1, v1
	s_waitcnt lgkmcnt(0)
	v_add_u32_e32 v3, s4, v1
.LBB16_83:
	s_or_b64 exec, exec, s[2:3]
	v_add_u32_e32 v1, v3, v25
	v_add_u32_e32 v25, -1, v24
	v_and_b32_e32 v26, 64, v24
	v_cmp_lt_i32_e32 vcc, v25, v26
	s_nop 1
	v_cndmask_b32_e32 v25, v25, v24, vcc
	v_lshlrev_b32_e32 v25, 2, v25
	ds_bpermute_b32 v1, v25, v1
	v_cmp_eq_u32_e32 vcc, 0, v24
	s_waitcnt lgkmcnt(0)
	s_nop 0
	v_cndmask_b32_e32 v24, v1, v3, vcc
	v_cmp_eq_u32_e32 vcc, 0, v0
	s_and_saveexec_b64 s[2:3], vcc
	s_cbranch_execz .LBB16_85
; %bb.84:
	v_mov_b32_e32 v1, 0
	ds_read_b32 v3, v1 offset:12
	v_mov_b32_e32 v25, 2
	s_waitcnt lgkmcnt(0)
	v_add_u32_e32 v24, s4, v3
	global_store_dwordx2 v1, v[24:25], s[16:17] offset:512 sc1
	v_mov_b32_e32 v24, s4
.LBB16_85:
	s_or_b64 exec, exec, s[2:3]
.LBB16_86:
	v_add_u32_e32 v1, v24, v22
	v_add_u32_e32 v22, v1, v23
	v_add_u32_e32 v20, v22, v20
	v_add_u32_e32 v21, v20, v21
	v_add_u32_e32 v18, v21, v18
	v_add_u32_e32 v19, v18, v19
	v_add_u32_e32 v16, v19, v16
	v_add_u32_e32 v17, v16, v17
	v_add_u32_e32 v14, v17, v14
	v_add_u32_e32 v15, v14, v15
	v_add_u32_e32 v12, v15, v12
	v_add_u32_e32 v13, v12, v13
	v_add_u32_e32 v10, v13, v10
	v_add_u32_e32 v11, v10, v11
	v_add_u32_e32 v8, v11, v8
	v_add_u32_e32 v9, v8, v9
	v_add_u32_e32 v6, v9, v6
	v_add_u32_e32 v7, v6, v7
	v_add_u32_e32 v4, v7, v4
	s_add_u32 s2, s10, s14
	v_add_u32_e32 v5, v4, v5
	s_addc_u32 s3, s11, s15
	s_waitcnt lgkmcnt(0)
	s_mov_b64 s[4:5], -1
	s_and_b64 vcc, exec, s[12:13]
	s_barrier
	s_cbranch_vccz .LBB16_88
; %bb.87:
	v_mul_u32_u24_e32 v3, 0x54, v0
	s_movk_i32 s4, 0x54
	ds_write2_b32 v3, v24, v1 offset1:1
	ds_write2_b32 v3, v22, v20 offset0:2 offset1:3
	ds_write2_b32 v3, v21, v18 offset0:4 offset1:5
	;; [unrolled: 1-line block ×9, first 2 shown]
	ds_write_b32 v3, v5 offset:80
	v_mul_i32_i24_e32 v3, 0xffffffb0, v0
	v_mad_u32_u24 v3, v0, s4, v3
	s_waitcnt lgkmcnt(0)
	s_barrier
	ds_read2st64_b32 v[26:27], v3 offset1:4
	ds_read2st64_b32 v[28:29], v3 offset0:8 offset1:12
	ds_read2st64_b32 v[30:31], v3 offset0:16 offset1:20
	;; [unrolled: 1-line block ×9, first 2 shown]
	ds_read_b32 v23, v3 offset:20480
	v_mov_b32_e32 v3, 0
	v_lshl_add_u64 v[48:49], s[2:3], 0, v[2:3]
	s_movk_i32 s4, 0x1000
	s_waitcnt lgkmcnt(10)
	global_store_dword v2, v26, s[2:3]
	global_store_dword v2, v27, s[2:3] offset:1024
	s_waitcnt lgkmcnt(9)
	global_store_dword v2, v28, s[2:3] offset:2048
	global_store_dword v2, v29, s[2:3] offset:3072
	v_add_co_u32_e32 v26, vcc, s4, v48
	s_movk_i32 s4, 0x2000
	s_nop 0
	v_addc_co_u32_e32 v27, vcc, 0, v49, vcc
	v_add_co_u32_e32 v28, vcc, s4, v48
	s_movk_i32 s4, 0x3000
	s_nop 0
	v_addc_co_u32_e32 v29, vcc, 0, v49, vcc
	s_waitcnt lgkmcnt(8)
	global_store_dword v[28:29], v30, off offset:-4096
	global_store_dword v[26:27], v31, off offset:1024
	s_waitcnt lgkmcnt(7)
	global_store_dword v[26:27], v32, off offset:2048
	global_store_dword v[26:27], v33, off offset:3072
	s_waitcnt lgkmcnt(6)
	global_store_dword v[28:29], v36, off
	global_store_dword v[28:29], v37, off offset:1024
	s_waitcnt lgkmcnt(5)
	global_store_dword v[28:29], v38, off offset:2048
	global_store_dword v[28:29], v39, off offset:3072
	v_add_co_u32_e32 v26, vcc, s4, v48
	s_mov_b64 s[4:5], 0
	s_nop 0
	v_addc_co_u32_e32 v27, vcc, 0, v49, vcc
	s_waitcnt lgkmcnt(4)
	global_store_dword v[26:27], v40, off
	global_store_dword v[26:27], v41, off offset:1024
	s_waitcnt lgkmcnt(3)
	global_store_dword v[26:27], v42, off offset:2048
	global_store_dword v[26:27], v43, off offset:3072
	v_add_co_u32_e32 v26, vcc, 0x4000, v48
	s_nop 1
	v_addc_co_u32_e32 v27, vcc, 0, v49, vcc
	s_waitcnt lgkmcnt(2)
	global_store_dword v[26:27], v44, off
	global_store_dword v[26:27], v45, off offset:1024
	s_waitcnt lgkmcnt(1)
	global_store_dword v[26:27], v46, off offset:2048
	global_store_dword v[26:27], v47, off offset:3072
	v_add_co_u32_e32 v26, vcc, 0x5000, v48
	s_nop 1
	v_addc_co_u32_e32 v27, vcc, 0, v49, vcc
	s_waitcnt lgkmcnt(0)
	global_store_dword v[26:27], v23, off
.LBB16_88:
	s_andn2_b64 vcc, exec, s[4:5]
	s_cbranch_vccnz .LBB16_209
; %bb.89:
	v_mul_u32_u24_e32 v3, 0x54, v0
	s_movk_i32 s4, 0x54
	ds_write2_b32 v3, v24, v1 offset1:1
	ds_write2_b32 v3, v22, v20 offset0:2 offset1:3
	ds_write2_b32 v3, v21, v18 offset0:4 offset1:5
	;; [unrolled: 1-line block ×9, first 2 shown]
	ds_write_b32 v3, v5 offset:80
	v_mul_i32_i24_e32 v1, 0xffffffb0, v0
	v_mad_u32_u24 v1, v0, s4, v1
	s_waitcnt lgkmcnt(0)
	s_barrier
	ds_read2st64_b32 v[6:7], v1 offset1:4
	ds_read2st64_b32 v[8:9], v1 offset0:8 offset1:12
	ds_read2st64_b32 v[10:11], v1 offset0:16 offset1:20
	;; [unrolled: 1-line block ×9, first 2 shown]
	ds_read_b32 v26, v1 offset:20480
	v_mov_b32_e32 v3, 0
	v_lshl_add_u64 v[24:25], s[2:3], 0, v[2:3]
	v_cmp_gt_u32_e32 vcc, s22, v0
	s_and_saveexec_b64 s[2:3], vcc
	s_cbranch_execz .LBB16_91
; %bb.90:
	s_waitcnt lgkmcnt(10)
	global_store_dword v[24:25], v6, off
.LBB16_91:
	s_or_b64 exec, exec, s[2:3]
	v_or_b32_e32 v1, 0x100, v0
	v_cmp_gt_u32_e32 vcc, s22, v1
	s_and_saveexec_b64 s[2:3], vcc
	s_cbranch_execz .LBB16_93
; %bb.92:
	s_waitcnt lgkmcnt(10)
	global_store_dword v[24:25], v7, off offset:1024
.LBB16_93:
	s_or_b64 exec, exec, s[2:3]
	v_or_b32_e32 v1, 0x200, v0
	v_cmp_gt_u32_e32 vcc, s22, v1
	s_and_saveexec_b64 s[2:3], vcc
	s_cbranch_execz .LBB16_95
; %bb.94:
	s_waitcnt lgkmcnt(9)
	global_store_dword v[24:25], v8, off offset:2048
.LBB16_95:
	;; [unrolled: 9-line block ×3, first 2 shown]
	s_or_b64 exec, exec, s[2:3]
	v_or_b32_e32 v1, 0x400, v0
	v_cmp_gt_u32_e32 vcc, s22, v1
	s_and_saveexec_b64 s[2:3], vcc
	s_cbranch_execz .LBB16_99
; %bb.98:
	v_add_co_u32_e32 v28, vcc, 0x1000, v24
	s_nop 1
	v_addc_co_u32_e32 v29, vcc, 0, v25, vcc
	s_waitcnt lgkmcnt(8)
	global_store_dword v[28:29], v10, off
.LBB16_99:
	s_or_b64 exec, exec, s[2:3]
	v_or_b32_e32 v1, 0x500, v0
	v_cmp_gt_u32_e32 vcc, s22, v1
	s_and_saveexec_b64 s[2:3], vcc
	s_cbranch_execz .LBB16_101
; %bb.100:
	v_add_co_u32_e32 v28, vcc, 0x1000, v24
	s_nop 1
	v_addc_co_u32_e32 v29, vcc, 0, v25, vcc
	s_waitcnt lgkmcnt(8)
	global_store_dword v[28:29], v11, off offset:1024
.LBB16_101:
	s_or_b64 exec, exec, s[2:3]
	v_or_b32_e32 v1, 0x600, v0
	v_cmp_gt_u32_e32 vcc, s22, v1
	s_and_saveexec_b64 s[2:3], vcc
	s_cbranch_execz .LBB16_103
; %bb.102:
	v_add_co_u32_e32 v28, vcc, 0x1000, v24
	s_nop 1
	v_addc_co_u32_e32 v29, vcc, 0, v25, vcc
	s_waitcnt lgkmcnt(7)
	global_store_dword v[28:29], v16, off offset:2048
.LBB16_103:
	s_or_b64 exec, exec, s[2:3]
	v_or_b32_e32 v1, 0x700, v0
	v_cmp_gt_u32_e32 vcc, s22, v1
	s_and_saveexec_b64 s[2:3], vcc
	s_cbranch_execz .LBB16_105
; %bb.104:
	v_add_co_u32_e32 v28, vcc, 0x1000, v24
	s_nop 1
	v_addc_co_u32_e32 v29, vcc, 0, v25, vcc
	s_waitcnt lgkmcnt(7)
	global_store_dword v[28:29], v17, off offset:3072
.LBB16_105:
	s_or_b64 exec, exec, s[2:3]
	v_or_b32_e32 v1, 0x800, v0
	v_cmp_gt_u32_e32 vcc, s22, v1
	s_and_saveexec_b64 s[2:3], vcc
	s_cbranch_execz .LBB16_107
; %bb.106:
	v_add_co_u32_e32 v28, vcc, 0x2000, v24
	s_nop 1
	v_addc_co_u32_e32 v29, vcc, 0, v25, vcc
	s_waitcnt lgkmcnt(6)
	global_store_dword v[28:29], v12, off
.LBB16_107:
	s_or_b64 exec, exec, s[2:3]
	v_or_b32_e32 v1, 0x900, v0
	v_cmp_gt_u32_e32 vcc, s22, v1
	s_and_saveexec_b64 s[2:3], vcc
	s_cbranch_execz .LBB16_109
; %bb.108:
	v_add_co_u32_e32 v28, vcc, 0x2000, v24
	s_nop 1
	v_addc_co_u32_e32 v29, vcc, 0, v25, vcc
	s_waitcnt lgkmcnt(6)
	global_store_dword v[28:29], v13, off offset:1024
.LBB16_109:
	s_or_b64 exec, exec, s[2:3]
	v_or_b32_e32 v1, 0xa00, v0
	v_cmp_gt_u32_e32 vcc, s22, v1
	s_and_saveexec_b64 s[2:3], vcc
	s_cbranch_execz .LBB16_111
; %bb.110:
	v_add_co_u32_e32 v28, vcc, 0x2000, v24
	s_nop 1
	v_addc_co_u32_e32 v29, vcc, 0, v25, vcc
	s_waitcnt lgkmcnt(5)
	global_store_dword v[28:29], v4, off offset:2048
.LBB16_111:
	s_or_b64 exec, exec, s[2:3]
	v_or_b32_e32 v1, 0xb00, v0
	v_cmp_gt_u32_e32 vcc, s22, v1
	s_and_saveexec_b64 s[2:3], vcc
	s_cbranch_execz .LBB16_113
; %bb.112:
	v_add_co_u32_e32 v28, vcc, 0x2000, v24
	s_nop 1
	v_addc_co_u32_e32 v29, vcc, 0, v25, vcc
	s_waitcnt lgkmcnt(5)
	global_store_dword v[28:29], v5, off offset:3072
.LBB16_113:
	;; [unrolled: 48-line block ×4, first 2 shown]
	s_or_b64 exec, exec, s[2:3]
	v_or_b32_e32 v1, 0x1400, v0
	v_cmp_gt_u32_e32 vcc, s22, v1
	s_and_saveexec_b64 s[2:3], vcc
	s_cbranch_execz .LBB16_131
; %bb.130:
	v_add_co_u32_e32 v24, vcc, 0x5000, v24
	s_nop 1
	v_addc_co_u32_e32 v25, vcc, 0, v25, vcc
	s_waitcnt lgkmcnt(0)
	global_store_dword v[24:25], v26, off
.LBB16_131:
	s_or_b64 exec, exec, s[2:3]
	s_load_dword s0, s[0:1], 0x40
	s_waitcnt lgkmcnt(0)
	s_bfe_u32 s0, s0, 0x10008
	s_cmp_eq_u32 s0, 0
	s_cbranch_scc1 .LBB16_209
; %bb.132:
	s_add_u32 s0, s22, -1
	s_addc_u32 s1, s23, -1
	s_add_u32 s2, 0, 0x30c26c00
	s_addc_u32 s3, 0, 44
	s_add_i32 s3, s3, 0xc30c2e0
	s_mul_hi_u32 s9, s2, 0xffffffeb
	s_sub_i32 s9, s9, s2
	s_mul_i32 s10, s3, 0xffffffeb
	s_mul_i32 s4, s2, 0xffffffeb
	s_add_i32 s9, s9, s10
	s_mul_hi_u32 s5, s3, s4
	s_mul_i32 s8, s3, s4
	s_mul_i32 s11, s2, s9
	s_mul_hi_u32 s4, s2, s4
	s_mul_hi_u32 s10, s2, s9
	s_add_u32 s4, s4, s11
	s_addc_u32 s10, 0, s10
	s_add_u32 s4, s4, s8
	s_mul_hi_u32 s11, s3, s9
	s_addc_u32 s4, s10, s5
	s_addc_u32 s5, s11, 0
	s_mul_i32 s8, s3, s9
	s_add_u32 s4, s4, s8
	v_mov_b32_e32 v2, s4
	s_addc_u32 s5, 0, s5
	v_add_co_u32_e32 v2, vcc, s2, v2
	s_cmp_lg_u64 vcc, 0
	s_addc_u32 s2, s3, s5
	v_readfirstlane_b32 s5, v2
	s_mul_i32 s4, s0, s2
	s_mul_hi_u32 s8, s0, s5
	s_mul_hi_u32 s3, s0, s2
	s_add_u32 s4, s8, s4
	s_addc_u32 s3, 0, s3
	s_mul_hi_u32 s9, s1, s5
	s_mul_i32 s5, s1, s5
	s_add_u32 s4, s4, s5
	s_mul_hi_u32 s8, s1, s2
	s_addc_u32 s3, s3, s9
	s_addc_u32 s4, s8, 0
	s_mul_i32 s2, s1, s2
	s_add_u32 s2, s3, s2
	s_addc_u32 s3, 0, s4
	s_add_u32 s4, s2, 1
	s_addc_u32 s5, s3, 0
	s_add_u32 s8, s2, 2
	s_mul_i32 s10, s3, 21
	s_mul_hi_u32 s11, s2, 21
	s_addc_u32 s9, s3, 0
	s_add_i32 s11, s11, s10
	s_mul_i32 s10, s2, 21
	v_mov_b32_e32 v2, s10
	v_sub_co_u32_e32 v2, vcc, s0, v2
	s_cmp_lg_u64 vcc, 0
	v_mov_b32_e32 v1, v3
	s_subb_u32 s10, s1, s11
	v_subrev_co_u32_e32 v3, vcc, 21, v2
	s_cmp_lg_u64 vcc, 0
	s_subb_u32 s11, s10, 0
	v_readfirstlane_b32 s12, v3
	s_cmp_gt_u32 s12, 20
	s_cselect_b32 s12, -1, 0
	s_cmp_eq_u32 s11, 0
	s_cselect_b32 s11, s12, -1
	s_cmp_lg_u32 s11, 0
	s_cselect_b32 s4, s8, s4
	v_readfirstlane_b32 s8, v2
	s_cselect_b32 s5, s9, s5
	s_cmp_gt_u32 s8, 20
	s_cselect_b32 s8, -1, 0
	s_cmp_eq_u32 s10, 0
	s_cselect_b32 s8, s8, -1
	s_cmp_lg_u32 s8, 0
	s_cselect_b32 s3, s5, s3
	s_cselect_b32 s2, s4, s2
	v_cmp_eq_u64_e32 vcc, s[2:3], v[0:1]
	s_and_saveexec_b64 s[2:3], vcc
	s_cbranch_execz .LBB16_209
; %bb.133:
	v_mul_hi_u32_u24_e32 v1, 21, v0
	v_mov_b32_e32 v2, s1
	v_sub_co_u32_e32 v0, vcc, s0, v34
	s_nop 1
	v_subb_co_u32_e32 v1, vcc, v2, v1, vcc
	v_cmp_lt_i64_e32 vcc, 10, v[0:1]
	s_and_saveexec_b64 s[0:1], vcc
	s_xor_b64 s[0:1], exec, s[0:1]
	s_cbranch_execz .LBB16_171
; %bb.134:
	v_cmp_lt_i64_e32 vcc, 15, v[0:1]
	s_and_saveexec_b64 s[2:3], vcc
	s_xor_b64 s[2:3], exec, s[2:3]
	s_cbranch_execz .LBB16_152
; %bb.135:
	;; [unrolled: 5-line block ×5, first 2 shown]
	v_mov_b32_e32 v0, 0
	global_store_dword v0, v26, s[6:7]
                                        ; implicit-def: $vgpr20_vgpr21
.LBB16_139:
	s_andn2_saveexec_b64 s[10:11], s[10:11]
	s_cbranch_execz .LBB16_141
; %bb.140:
	v_mov_b32_e32 v0, 0
	global_store_dword v0, v21, s[6:7]
.LBB16_141:
	s_or_b64 exec, exec, s[10:11]
                                        ; implicit-def: $vgpr20_vgpr21
.LBB16_142:
	s_andn2_saveexec_b64 s[8:9], s[8:9]
	s_cbranch_execz .LBB16_144
; %bb.143:
	v_mov_b32_e32 v0, 0
	global_store_dword v0, v20, s[6:7]
.LBB16_144:
	s_or_b64 exec, exec, s[8:9]
                                        ; implicit-def: $vgpr22_vgpr23
                                        ; implicit-def: $vgpr0_vgpr1
.LBB16_145:
	s_andn2_saveexec_b64 s[4:5], s[4:5]
	s_cbranch_execz .LBB16_151
; %bb.146:
	v_cmp_lt_i64_e32 vcc, 16, v[0:1]
	s_and_saveexec_b64 s[8:9], vcc
	s_xor_b64 s[8:9], exec, s[8:9]
	s_cbranch_execz .LBB16_148
; %bb.147:
	v_mov_b32_e32 v0, 0
	global_store_dword v0, v23, s[6:7]
                                        ; implicit-def: $vgpr22_vgpr23
.LBB16_148:
	s_andn2_saveexec_b64 s[8:9], s[8:9]
	s_cbranch_execz .LBB16_150
; %bb.149:
	v_mov_b32_e32 v0, 0
	global_store_dword v0, v22, s[6:7]
.LBB16_150:
	s_or_b64 exec, exec, s[8:9]
.LBB16_151:
	s_or_b64 exec, exec, s[4:5]
                                        ; implicit-def: $vgpr0_vgpr1
                                        ; implicit-def: $vgpr4_vgpr5
                                        ; implicit-def: $vgpr14_vgpr15
                                        ; implicit-def: $vgpr18_vgpr19
.LBB16_152:
	s_andn2_saveexec_b64 s[2:3], s[2:3]
	s_cbranch_execz .LBB16_170
; %bb.153:
	v_cmp_lt_i64_e32 vcc, 12, v[0:1]
	s_and_saveexec_b64 s[4:5], vcc
	s_xor_b64 s[4:5], exec, s[4:5]
	s_cbranch_execz .LBB16_163
; %bb.154:
	v_cmp_lt_i64_e32 vcc, 13, v[0:1]
	s_and_saveexec_b64 s[8:9], vcc
	s_xor_b64 s[8:9], exec, s[8:9]
	;; [unrolled: 5-line block ×3, first 2 shown]
	s_cbranch_execz .LBB16_157
; %bb.156:
	v_mov_b32_e32 v0, 0
	global_store_dword v0, v19, s[6:7]
                                        ; implicit-def: $vgpr18_vgpr19
.LBB16_157:
	s_andn2_saveexec_b64 s[10:11], s[10:11]
	s_cbranch_execz .LBB16_159
; %bb.158:
	v_mov_b32_e32 v0, 0
	global_store_dword v0, v18, s[6:7]
.LBB16_159:
	s_or_b64 exec, exec, s[10:11]
                                        ; implicit-def: $vgpr14_vgpr15
.LBB16_160:
	s_andn2_saveexec_b64 s[8:9], s[8:9]
	s_cbranch_execz .LBB16_162
; %bb.161:
	v_mov_b32_e32 v0, 0
	global_store_dword v0, v15, s[6:7]
.LBB16_162:
	s_or_b64 exec, exec, s[8:9]
                                        ; implicit-def: $vgpr4_vgpr5
                                        ; implicit-def: $vgpr0_vgpr1
                                        ; implicit-def: $vgpr14_vgpr15
.LBB16_163:
	s_andn2_saveexec_b64 s[4:5], s[4:5]
	s_cbranch_execz .LBB16_169
; %bb.164:
	v_cmp_lt_i64_e32 vcc, 11, v[0:1]
	s_and_saveexec_b64 s[8:9], vcc
	s_xor_b64 s[8:9], exec, s[8:9]
	s_cbranch_execz .LBB16_166
; %bb.165:
	v_mov_b32_e32 v0, 0
	global_store_dword v0, v14, s[6:7]
                                        ; implicit-def: $vgpr4_vgpr5
.LBB16_166:
	s_andn2_saveexec_b64 s[8:9], s[8:9]
	s_cbranch_execz .LBB16_168
; %bb.167:
	v_mov_b32_e32 v0, 0
	global_store_dword v0, v5, s[6:7]
.LBB16_168:
	s_or_b64 exec, exec, s[8:9]
.LBB16_169:
	s_or_b64 exec, exec, s[4:5]
.LBB16_170:
	s_or_b64 exec, exec, s[2:3]
                                        ; implicit-def: $vgpr0_vgpr1
                                        ; implicit-def: $vgpr16_vgpr17
                                        ; implicit-def: $vgpr8_vgpr9
                                        ; implicit-def: $vgpr6_vgpr7
                                        ; implicit-def: $vgpr12_vgpr13
                                        ; implicit-def: $vgpr10_vgpr11
                                        ; implicit-def: $vgpr4_vgpr5
.LBB16_171:
	s_andn2_saveexec_b64 s[0:1], s[0:1]
	s_cbranch_execz .LBB16_209
; %bb.172:
	v_cmp_lt_i64_e32 vcc, 5, v[0:1]
	s_and_saveexec_b64 s[0:1], vcc
	s_xor_b64 s[0:1], exec, s[0:1]
	s_cbranch_execz .LBB16_190
; %bb.173:
	v_cmp_lt_i64_e32 vcc, 7, v[0:1]
	s_and_saveexec_b64 s[2:3], vcc
	s_xor_b64 s[2:3], exec, s[2:3]
	;; [unrolled: 5-line block ×4, first 2 shown]
	s_cbranch_execz .LBB16_177
; %bb.176:
	v_mov_b32_e32 v0, 0
	global_store_dword v0, v4, s[6:7]
                                        ; implicit-def: $vgpr12_vgpr13
.LBB16_177:
	s_andn2_saveexec_b64 s[8:9], s[8:9]
	s_cbranch_execz .LBB16_179
; %bb.178:
	v_mov_b32_e32 v0, 0
	global_store_dword v0, v13, s[6:7]
.LBB16_179:
	s_or_b64 exec, exec, s[8:9]
                                        ; implicit-def: $vgpr12_vgpr13
.LBB16_180:
	s_andn2_saveexec_b64 s[4:5], s[4:5]
	s_cbranch_execz .LBB16_182
; %bb.181:
	v_mov_b32_e32 v0, 0
	global_store_dword v0, v12, s[6:7]
.LBB16_182:
	s_or_b64 exec, exec, s[4:5]
                                        ; implicit-def: $vgpr16_vgpr17
                                        ; implicit-def: $vgpr0_vgpr1
.LBB16_183:
	s_andn2_saveexec_b64 s[2:3], s[2:3]
	s_cbranch_execz .LBB16_189
; %bb.184:
	v_cmp_lt_i64_e32 vcc, 6, v[0:1]
	s_and_saveexec_b64 s[4:5], vcc
	s_xor_b64 s[4:5], exec, s[4:5]
	s_cbranch_execz .LBB16_186
; %bb.185:
	v_mov_b32_e32 v0, 0
	global_store_dword v0, v17, s[6:7]
                                        ; implicit-def: $vgpr16_vgpr17
.LBB16_186:
	s_andn2_saveexec_b64 s[4:5], s[4:5]
	s_cbranch_execz .LBB16_188
; %bb.187:
	v_mov_b32_e32 v0, 0
	global_store_dword v0, v16, s[6:7]
.LBB16_188:
	s_or_b64 exec, exec, s[4:5]
.LBB16_189:
	s_or_b64 exec, exec, s[2:3]
                                        ; implicit-def: $vgpr0_vgpr1
                                        ; implicit-def: $vgpr8_vgpr9
                                        ; implicit-def: $vgpr6_vgpr7
                                        ; implicit-def: $vgpr10_vgpr11
.LBB16_190:
	s_andn2_saveexec_b64 s[0:1], s[0:1]
	s_cbranch_execz .LBB16_209
; %bb.191:
	v_cmp_lt_i64_e32 vcc, 2, v[0:1]
	s_and_saveexec_b64 s[0:1], vcc
	s_xor_b64 s[0:1], exec, s[0:1]
	s_cbranch_execz .LBB16_201
; %bb.192:
	v_cmp_lt_i64_e32 vcc, 3, v[0:1]
	s_and_saveexec_b64 s[2:3], vcc
	s_xor_b64 s[2:3], exec, s[2:3]
	;; [unrolled: 5-line block ×3, first 2 shown]
	s_cbranch_execz .LBB16_195
; %bb.194:
	v_mov_b32_e32 v0, 0
	global_store_dword v0, v11, s[6:7]
                                        ; implicit-def: $vgpr10_vgpr11
.LBB16_195:
	s_andn2_saveexec_b64 s[4:5], s[4:5]
	s_cbranch_execz .LBB16_197
; %bb.196:
	v_mov_b32_e32 v0, 0
	global_store_dword v0, v10, s[6:7]
.LBB16_197:
	s_or_b64 exec, exec, s[4:5]
                                        ; implicit-def: $vgpr8_vgpr9
.LBB16_198:
	s_andn2_saveexec_b64 s[2:3], s[2:3]
	s_cbranch_execz .LBB16_200
; %bb.199:
	v_mov_b32_e32 v0, 0
	global_store_dword v0, v9, s[6:7]
.LBB16_200:
	s_or_b64 exec, exec, s[2:3]
                                        ; implicit-def: $vgpr0_vgpr1
                                        ; implicit-def: $vgpr8_vgpr9
                                        ; implicit-def: $vgpr6_vgpr7
.LBB16_201:
	s_andn2_saveexec_b64 s[0:1], s[0:1]
	s_cbranch_execz .LBB16_209
; %bb.202:
	v_cmp_lt_i64_e32 vcc, 1, v[0:1]
	s_and_saveexec_b64 s[0:1], vcc
	s_xor_b64 s[0:1], exec, s[0:1]
	s_cbranch_execz .LBB16_204
; %bb.203:
	v_mov_b32_e32 v0, 0
	global_store_dword v0, v8, s[6:7]
                                        ; implicit-def: $vgpr6_vgpr7
                                        ; implicit-def: $vgpr0_vgpr1
.LBB16_204:
	s_andn2_saveexec_b64 s[0:1], s[0:1]
	s_cbranch_execz .LBB16_209
; %bb.205:
	v_cmp_ne_u64_e32 vcc, 1, v[0:1]
	s_and_saveexec_b64 s[0:1], vcc
	s_xor_b64 s[0:1], exec, s[0:1]
	s_cbranch_execz .LBB16_207
; %bb.206:
	v_mov_b32_e32 v0, 0
	global_store_dword v0, v6, s[6:7]
                                        ; implicit-def: $vgpr6_vgpr7
.LBB16_207:
	s_andn2_saveexec_b64 s[0:1], s[0:1]
	s_cbranch_execz .LBB16_209
; %bb.208:
	v_mov_b32_e32 v0, 0
	global_store_dword v0, v7, s[6:7]
.LBB16_209:
	s_endpgm
	.section	.rodata,"a",@progbits
	.p2align	6, 0x0
	.amdhsa_kernel _ZN7rocprim17ROCPRIM_304000_NS6detail20lookback_scan_kernelILNS1_25lookback_scan_determinismE0ELb1ENS1_19wrapped_scan_configINS0_14default_configEiEEPKiPiN2at4cuda3cub12_GLOBAL__N_15SumOpIiEEiiNS1_19lookback_scan_stateIiLb0ELb1EEEEEvT2_T3_mT5_T4_T7_jPT6_SO_bb
		.amdhsa_group_segment_fixed_size 21504
		.amdhsa_private_segment_fixed_size 0
		.amdhsa_kernarg_size 68
		.amdhsa_user_sgpr_count 2
		.amdhsa_user_sgpr_dispatch_ptr 0
		.amdhsa_user_sgpr_queue_ptr 0
		.amdhsa_user_sgpr_kernarg_segment_ptr 1
		.amdhsa_user_sgpr_dispatch_id 0
		.amdhsa_user_sgpr_kernarg_preload_length 0
		.amdhsa_user_sgpr_kernarg_preload_offset 0
		.amdhsa_user_sgpr_private_segment_size 0
		.amdhsa_uses_dynamic_stack 0
		.amdhsa_enable_private_segment 0
		.amdhsa_system_sgpr_workgroup_id_x 1
		.amdhsa_system_sgpr_workgroup_id_y 0
		.amdhsa_system_sgpr_workgroup_id_z 0
		.amdhsa_system_sgpr_workgroup_info 0
		.amdhsa_system_vgpr_workitem_id 0
		.amdhsa_next_free_vgpr 54
		.amdhsa_next_free_sgpr 26
		.amdhsa_accum_offset 56
		.amdhsa_reserve_vcc 1
		.amdhsa_float_round_mode_32 0
		.amdhsa_float_round_mode_16_64 0
		.amdhsa_float_denorm_mode_32 3
		.amdhsa_float_denorm_mode_16_64 3
		.amdhsa_dx10_clamp 1
		.amdhsa_ieee_mode 1
		.amdhsa_fp16_overflow 0
		.amdhsa_tg_split 0
		.amdhsa_exception_fp_ieee_invalid_op 0
		.amdhsa_exception_fp_denorm_src 0
		.amdhsa_exception_fp_ieee_div_zero 0
		.amdhsa_exception_fp_ieee_overflow 0
		.amdhsa_exception_fp_ieee_underflow 0
		.amdhsa_exception_fp_ieee_inexact 0
		.amdhsa_exception_int_div_zero 0
	.end_amdhsa_kernel
	.section	.text._ZN7rocprim17ROCPRIM_304000_NS6detail20lookback_scan_kernelILNS1_25lookback_scan_determinismE0ELb1ENS1_19wrapped_scan_configINS0_14default_configEiEEPKiPiN2at4cuda3cub12_GLOBAL__N_15SumOpIiEEiiNS1_19lookback_scan_stateIiLb0ELb1EEEEEvT2_T3_mT5_T4_T7_jPT6_SO_bb,"axG",@progbits,_ZN7rocprim17ROCPRIM_304000_NS6detail20lookback_scan_kernelILNS1_25lookback_scan_determinismE0ELb1ENS1_19wrapped_scan_configINS0_14default_configEiEEPKiPiN2at4cuda3cub12_GLOBAL__N_15SumOpIiEEiiNS1_19lookback_scan_stateIiLb0ELb1EEEEEvT2_T3_mT5_T4_T7_jPT6_SO_bb,comdat
.Lfunc_end16:
	.size	_ZN7rocprim17ROCPRIM_304000_NS6detail20lookback_scan_kernelILNS1_25lookback_scan_determinismE0ELb1ENS1_19wrapped_scan_configINS0_14default_configEiEEPKiPiN2at4cuda3cub12_GLOBAL__N_15SumOpIiEEiiNS1_19lookback_scan_stateIiLb0ELb1EEEEEvT2_T3_mT5_T4_T7_jPT6_SO_bb, .Lfunc_end16-_ZN7rocprim17ROCPRIM_304000_NS6detail20lookback_scan_kernelILNS1_25lookback_scan_determinismE0ELb1ENS1_19wrapped_scan_configINS0_14default_configEiEEPKiPiN2at4cuda3cub12_GLOBAL__N_15SumOpIiEEiiNS1_19lookback_scan_stateIiLb0ELb1EEEEEvT2_T3_mT5_T4_T7_jPT6_SO_bb
                                        ; -- End function
	.section	.AMDGPU.csdata,"",@progbits
; Kernel info:
; codeLenInByte = 6936
; NumSgprs: 32
; NumVgprs: 54
; NumAgprs: 0
; TotalNumVgprs: 54
; ScratchSize: 0
; MemoryBound: 0
; FloatMode: 240
; IeeeMode: 1
; LDSByteSize: 21504 bytes/workgroup (compile time only)
; SGPRBlocks: 3
; VGPRBlocks: 6
; NumSGPRsForWavesPerEU: 32
; NumVGPRsForWavesPerEU: 54
; AccumOffset: 56
; Occupancy: 3
; WaveLimiterHint : 1
; COMPUTE_PGM_RSRC2:SCRATCH_EN: 0
; COMPUTE_PGM_RSRC2:USER_SGPR: 2
; COMPUTE_PGM_RSRC2:TRAP_HANDLER: 0
; COMPUTE_PGM_RSRC2:TGID_X_EN: 1
; COMPUTE_PGM_RSRC2:TGID_Y_EN: 0
; COMPUTE_PGM_RSRC2:TGID_Z_EN: 0
; COMPUTE_PGM_RSRC2:TIDIG_COMP_CNT: 0
; COMPUTE_PGM_RSRC3_GFX90A:ACCUM_OFFSET: 13
; COMPUTE_PGM_RSRC3_GFX90A:TG_SPLIT: 0
	.section	.text._ZN7rocprim17ROCPRIM_304000_NS6detail18single_scan_kernelILb1ENS1_19wrapped_scan_configINS0_14default_configEiEEPKiPiN2at4cuda3cub12_GLOBAL__N_15SumOpIiEEiiEEvT1_mT4_T2_T3_,"axG",@progbits,_ZN7rocprim17ROCPRIM_304000_NS6detail18single_scan_kernelILb1ENS1_19wrapped_scan_configINS0_14default_configEiEEPKiPiN2at4cuda3cub12_GLOBAL__N_15SumOpIiEEiiEEvT1_mT4_T2_T3_,comdat
	.globl	_ZN7rocprim17ROCPRIM_304000_NS6detail18single_scan_kernelILb1ENS1_19wrapped_scan_configINS0_14default_configEiEEPKiPiN2at4cuda3cub12_GLOBAL__N_15SumOpIiEEiiEEvT1_mT4_T2_T3_ ; -- Begin function _ZN7rocprim17ROCPRIM_304000_NS6detail18single_scan_kernelILb1ENS1_19wrapped_scan_configINS0_14default_configEiEEPKiPiN2at4cuda3cub12_GLOBAL__N_15SumOpIiEEiiEEvT1_mT4_T2_T3_
	.p2align	8
	.type	_ZN7rocprim17ROCPRIM_304000_NS6detail18single_scan_kernelILb1ENS1_19wrapped_scan_configINS0_14default_configEiEEPKiPiN2at4cuda3cub12_GLOBAL__N_15SumOpIiEEiiEEvT1_mT4_T2_T3_,@function
_ZN7rocprim17ROCPRIM_304000_NS6detail18single_scan_kernelILb1ENS1_19wrapped_scan_configINS0_14default_configEiEEPKiPiN2at4cuda3cub12_GLOBAL__N_15SumOpIiEEiiEEvT1_mT4_T2_T3_: ; @_ZN7rocprim17ROCPRIM_304000_NS6detail18single_scan_kernelILb1ENS1_19wrapped_scan_configINS0_14default_configEiEEPKiPiN2at4cuda3cub12_GLOBAL__N_15SumOpIiEEiiEEvT1_mT4_T2_T3_
; %bb.0:
	s_load_dwordx4 s[44:47], s[0:1], 0x0
	v_mov_b32_e32 v3, 0
	v_lshlrev_b32_e32 v2, 2, v0
	s_waitcnt lgkmcnt(0)
	s_load_dword s33, s[44:45], 0x0
	v_lshl_add_u64 v[4:5], s[44:45], 0, v[2:3]
	v_cmp_gt_u32_e64 s[16:17], s46, v0
	s_waitcnt lgkmcnt(0)
	v_mov_b32_e32 v1, s33
	s_and_saveexec_b64 s[2:3], s[16:17]
	s_cbranch_execz .LBB17_2
; %bb.1:
	global_load_dword v1, v[4:5], off
.LBB17_2:
	s_or_b64 exec, exec, s[2:3]
	v_or_b32_e32 v3, 0x100, v0
	v_cmp_gt_u32_e64 s[2:3], s46, v3
	v_mov_b32_e32 v3, s33
	s_and_saveexec_b64 s[4:5], s[2:3]
	s_cbranch_execz .LBB17_4
; %bb.3:
	global_load_dword v3, v[4:5], off offset:1024
.LBB17_4:
	s_or_b64 exec, exec, s[4:5]
	v_or_b32_e32 v6, 0x200, v0
	v_cmp_gt_u32_e64 s[4:5], s46, v6
	v_mov_b32_e32 v6, s33
	s_and_saveexec_b64 s[6:7], s[4:5]
	s_cbranch_execz .LBB17_6
; %bb.5:
	global_load_dword v6, v[4:5], off offset:2048
.LBB17_6:
	;; [unrolled: 9-line block ×3, first 2 shown]
	s_or_b64 exec, exec, s[8:9]
	v_or_b32_e32 v8, 0x400, v0
	v_cmp_gt_u32_e64 s[8:9], s46, v8
	v_mov_b32_e32 v8, s33
	s_and_saveexec_b64 s[10:11], s[8:9]
	s_cbranch_execz .LBB17_10
; %bb.9:
	v_add_co_u32_e32 v8, vcc, 0x1000, v4
	s_nop 1
	v_addc_co_u32_e32 v9, vcc, 0, v5, vcc
	global_load_dword v8, v[8:9], off
.LBB17_10:
	s_or_b64 exec, exec, s[10:11]
	v_or_b32_e32 v9, 0x500, v0
	v_cmp_gt_u32_e64 s[10:11], s46, v9
	v_mov_b32_e32 v9, s33
	s_and_saveexec_b64 s[12:13], s[10:11]
	s_cbranch_execz .LBB17_12
; %bb.11:
	v_add_co_u32_e32 v10, vcc, 0x1000, v4
	s_nop 1
	v_addc_co_u32_e32 v11, vcc, 0, v5, vcc
	global_load_dword v9, v[10:11], off offset:1024
.LBB17_12:
	s_or_b64 exec, exec, s[12:13]
	v_or_b32_e32 v10, 0x600, v0
	v_cmp_gt_u32_e64 s[12:13], s46, v10
	v_mov_b32_e32 v10, s33
	s_and_saveexec_b64 s[14:15], s[12:13]
	s_cbranch_execz .LBB17_14
; %bb.13:
	v_add_co_u32_e32 v10, vcc, 0x1000, v4
	s_nop 1
	v_addc_co_u32_e32 v11, vcc, 0, v5, vcc
	global_load_dword v10, v[10:11], off offset:2048
.LBB17_14:
	s_or_b64 exec, exec, s[14:15]
	v_or_b32_e32 v11, 0x700, v0
	v_cmp_gt_u32_e64 s[14:15], s46, v11
	v_mov_b32_e32 v11, s33
	s_and_saveexec_b64 s[18:19], s[14:15]
	s_cbranch_execz .LBB17_16
; %bb.15:
	v_add_co_u32_e32 v12, vcc, 0x1000, v4
	s_nop 1
	v_addc_co_u32_e32 v13, vcc, 0, v5, vcc
	global_load_dword v11, v[12:13], off offset:3072
.LBB17_16:
	s_or_b64 exec, exec, s[18:19]
	v_or_b32_e32 v12, 0x800, v0
	v_cmp_gt_u32_e64 s[18:19], s46, v12
	v_mov_b32_e32 v12, s33
	s_and_saveexec_b64 s[20:21], s[18:19]
	s_cbranch_execz .LBB17_18
; %bb.17:
	v_add_co_u32_e32 v12, vcc, 0x2000, v4
	s_nop 1
	v_addc_co_u32_e32 v13, vcc, 0, v5, vcc
	global_load_dword v12, v[12:13], off
.LBB17_18:
	s_or_b64 exec, exec, s[20:21]
	v_or_b32_e32 v13, 0x900, v0
	v_cmp_gt_u32_e64 s[20:21], s46, v13
	v_mov_b32_e32 v13, s33
	s_and_saveexec_b64 s[22:23], s[20:21]
	s_cbranch_execz .LBB17_20
; %bb.19:
	v_add_co_u32_e32 v14, vcc, 0x2000, v4
	s_nop 1
	v_addc_co_u32_e32 v15, vcc, 0, v5, vcc
	global_load_dword v13, v[14:15], off offset:1024
.LBB17_20:
	s_or_b64 exec, exec, s[22:23]
	v_or_b32_e32 v14, 0xa00, v0
	v_cmp_gt_u32_e64 s[22:23], s46, v14
	v_mov_b32_e32 v14, s33
	s_and_saveexec_b64 s[24:25], s[22:23]
	s_cbranch_execz .LBB17_22
; %bb.21:
	v_add_co_u32_e32 v14, vcc, 0x2000, v4
	s_nop 1
	v_addc_co_u32_e32 v15, vcc, 0, v5, vcc
	global_load_dword v14, v[14:15], off offset:2048
.LBB17_22:
	s_or_b64 exec, exec, s[24:25]
	v_or_b32_e32 v15, 0xb00, v0
	v_cmp_gt_u32_e64 s[24:25], s46, v15
	v_mov_b32_e32 v15, s33
	s_and_saveexec_b64 s[26:27], s[24:25]
	s_cbranch_execz .LBB17_24
; %bb.23:
	v_add_co_u32_e32 v16, vcc, 0x2000, v4
	s_nop 1
	v_addc_co_u32_e32 v17, vcc, 0, v5, vcc
	global_load_dword v15, v[16:17], off offset:3072
.LBB17_24:
	;; [unrolled: 48-line block ×4, first 2 shown]
	s_or_b64 exec, exec, s[44:45]
	v_or_b32_e32 v24, 0x1400, v0
	v_cmp_gt_u32_e64 s[44:45], s46, v24
	v_mov_b32_e32 v24, s33
	s_and_saveexec_b64 s[46:47], s[44:45]
	s_cbranch_execz .LBB17_42
; %bb.41:
	v_add_co_u32_e32 v4, vcc, 0x5000, v4
	s_nop 1
	v_addc_co_u32_e32 v5, vcc, 0, v5, vcc
	global_load_dword v24, v[4:5], off
.LBB17_42:
	s_or_b64 exec, exec, s[46:47]
	s_movk_i32 s33, 0x50
	s_waitcnt vmcnt(0)
	ds_write2st64_b32 v2, v1, v3 offset1:4
	ds_write2st64_b32 v2, v6, v7 offset0:8 offset1:12
	ds_write2st64_b32 v2, v8, v9 offset0:16 offset1:20
	;; [unrolled: 1-line block ×9, first 2 shown]
	ds_write_b32 v2, v24 offset:20480
	v_mad_u32_u24 v1, v0, s33, v2
	s_waitcnt lgkmcnt(0)
	s_barrier
	ds_read2_b32 v[22:23], v1 offset1:1
	ds_read2_b32 v[20:21], v1 offset0:2 offset1:3
	ds_read2_b32 v[18:19], v1 offset0:4 offset1:5
	;; [unrolled: 1-line block ×9, first 2 shown]
	ds_read_b32 v1, v1 offset:80
	s_waitcnt lgkmcnt(9)
	v_add3_u32 v3, v23, v22, v20
	s_waitcnt lgkmcnt(8)
	v_add3_u32 v3, v3, v21, v18
	;; [unrolled: 2-line block ×10, first 2 shown]
	v_mbcnt_lo_u32_b32 v1, -1, 0
	v_mbcnt_hi_u32_b32 v1, -1, v1
	v_and_b32_e32 v24, 15, v1
	v_mov_b32_dpp v25, v3 row_shr:1 row_mask:0xf bank_mask:0xf
	v_cmp_ne_u32_e32 vcc, 0, v24
	s_barrier
	s_nop 0
	v_cndmask_b32_e32 v25, 0, v25, vcc
	v_add_u32_e32 v3, v25, v3
	v_cmp_lt_u32_e32 vcc, 1, v24
	s_nop 0
	v_mov_b32_dpp v25, v3 row_shr:2 row_mask:0xf bank_mask:0xf
	v_cndmask_b32_e32 v25, 0, v25, vcc
	v_add_u32_e32 v3, v3, v25
	v_cmp_lt_u32_e32 vcc, 3, v24
	s_nop 0
	v_mov_b32_dpp v25, v3 row_shr:4 row_mask:0xf bank_mask:0xf
	;; [unrolled: 5-line block ×3, first 2 shown]
	v_cndmask_b32_e32 v24, 0, v25, vcc
	v_add_u32_e32 v3, v3, v24
	v_bfe_i32 v25, v1, 4, 1
	v_cmp_lt_u32_e32 vcc, 31, v1
	v_mov_b32_dpp v24, v3 row_bcast:15 row_mask:0xf bank_mask:0xf
	v_and_b32_e32 v24, v25, v24
	v_add_u32_e32 v3, v3, v24
	v_lshrrev_b32_e32 v25, 6, v0
	s_nop 0
	v_mov_b32_dpp v24, v3 row_bcast:31 row_mask:0xf bank_mask:0xf
	v_cndmask_b32_e32 v24, 0, v24, vcc
	v_add_u32_e32 v24, v3, v24
	v_or_b32_e32 v3, 63, v0
	v_cmp_eq_u32_e32 vcc, v3, v0
	s_and_saveexec_b64 s[46:47], vcc
	s_cbranch_execz .LBB17_44
; %bb.43:
	v_lshlrev_b32_e32 v3, 2, v25
	ds_write_b32 v3, v24
.LBB17_44:
	s_or_b64 exec, exec, s[46:47]
	v_cmp_gt_u32_e32 vcc, 4, v0
	s_waitcnt lgkmcnt(0)
	s_barrier
	s_and_saveexec_b64 s[46:47], vcc
	s_cbranch_execz .LBB17_46
; %bb.45:
	ds_read_b32 v3, v2
	v_and_b32_e32 v26, 3, v1
	v_cmp_ne_u32_e32 vcc, 0, v26
	s_waitcnt lgkmcnt(0)
	v_mov_b32_dpp v27, v3 row_shr:1 row_mask:0xf bank_mask:0xf
	v_cndmask_b32_e32 v27, 0, v27, vcc
	v_add_u32_e32 v3, v27, v3
	v_cmp_lt_u32_e32 vcc, 1, v26
	s_nop 0
	v_mov_b32_dpp v27, v3 row_shr:2 row_mask:0xf bank_mask:0xf
	v_cndmask_b32_e32 v26, 0, v27, vcc
	v_add_u32_e32 v3, v3, v26
	ds_write_b32 v2, v3
.LBB17_46:
	s_or_b64 exec, exec, s[46:47]
	s_load_dword s33, s[0:1], 0x10
	v_mul_u32_u24_e32 v3, 0x50, v0
	v_cmp_lt_u32_e32 vcc, 63, v0
	s_waitcnt lgkmcnt(0)
	s_barrier
	v_mov_b32_e32 v26, s33
	s_and_saveexec_b64 s[46:47], vcc
	s_cbranch_execz .LBB17_48
; %bb.47:
	v_lshl_add_u32 v25, v25, 2, -4
	ds_read_b32 v25, v25
	s_waitcnt lgkmcnt(0)
	v_add_u32_e32 v26, s33, v25
.LBB17_48:
	s_or_b64 exec, exec, s[46:47]
	v_add_u32_e32 v25, -1, v1
	v_and_b32_e32 v27, 64, v1
	v_cmp_lt_i32_e32 vcc, v25, v27
	v_add_u32_e32 v24, v26, v24
	v_add_u32_e32 v3, v2, v3
	v_cndmask_b32_e32 v25, v25, v1, vcc
	v_lshlrev_b32_e32 v25, 2, v25
	ds_bpermute_b32 v24, v25, v24
	v_cmp_eq_u32_e32 vcc, 0, v1
	s_waitcnt lgkmcnt(0)
	s_barrier
	v_cndmask_b32_e32 v1, v24, v26, vcc
	v_mov_b32_e32 v24, s33
	v_cmp_eq_u32_e32 vcc, 0, v0
	s_load_dwordx2 s[0:1], s[0:1], 0x18
	s_nop 0
	v_cndmask_b32_e32 v0, v1, v24, vcc
	v_add_u32_e32 v1, v0, v22
	v_add_u32_e32 v22, v1, v23
	;; [unrolled: 1-line block ×20, first 2 shown]
	ds_write2_b32 v3, v0, v1 offset1:1
	ds_write2_b32 v3, v22, v20 offset0:2 offset1:3
	ds_write2_b32 v3, v21, v18 offset0:4 offset1:5
	ds_write2_b32 v3, v19, v16 offset0:6 offset1:7
	ds_write2_b32 v3, v17, v14 offset0:8 offset1:9
	ds_write2_b32 v3, v15, v12 offset0:10 offset1:11
	ds_write2_b32 v3, v13, v10 offset0:12 offset1:13
	ds_write2_b32 v3, v11, v8 offset0:14 offset1:15
	ds_write2_b32 v3, v9, v6 offset0:16 offset1:17
	ds_write2_b32 v3, v7, v4 offset0:18 offset1:19
	ds_write_b32 v3, v5 offset:80
	s_waitcnt lgkmcnt(0)
	s_barrier
	ds_read2st64_b32 v[22:23], v2 offset0:4 offset1:8
	ds_read2st64_b32 v[20:21], v2 offset0:12 offset1:16
	;; [unrolled: 1-line block ×10, first 2 shown]
	v_mov_b32_e32 v3, 0
	v_lshl_add_u64 v[4:5], s[0:1], 0, v[2:3]
	s_and_saveexec_b64 s[0:1], s[16:17]
	s_cbranch_execnz .LBB17_70
; %bb.49:
	s_or_b64 exec, exec, s[0:1]
	s_and_saveexec_b64 s[0:1], s[2:3]
	s_cbranch_execnz .LBB17_71
.LBB17_50:
	s_or_b64 exec, exec, s[0:1]
	s_and_saveexec_b64 s[0:1], s[4:5]
	s_cbranch_execnz .LBB17_72
.LBB17_51:
	s_or_b64 exec, exec, s[0:1]
	s_and_saveexec_b64 s[0:1], s[6:7]
	s_cbranch_execnz .LBB17_73
.LBB17_52:
	s_or_b64 exec, exec, s[0:1]
	s_and_saveexec_b64 s[0:1], s[8:9]
	s_cbranch_execnz .LBB17_74
.LBB17_53:
	s_or_b64 exec, exec, s[0:1]
	s_and_saveexec_b64 s[0:1], s[10:11]
	s_cbranch_execnz .LBB17_75
.LBB17_54:
	s_or_b64 exec, exec, s[0:1]
	s_and_saveexec_b64 s[0:1], s[12:13]
	s_cbranch_execnz .LBB17_76
.LBB17_55:
	s_or_b64 exec, exec, s[0:1]
	s_and_saveexec_b64 s[0:1], s[14:15]
	s_cbranch_execnz .LBB17_77
.LBB17_56:
	s_or_b64 exec, exec, s[0:1]
	s_and_saveexec_b64 s[0:1], s[18:19]
	s_cbranch_execnz .LBB17_78
.LBB17_57:
	s_or_b64 exec, exec, s[0:1]
	s_and_saveexec_b64 s[0:1], s[20:21]
	s_cbranch_execnz .LBB17_79
.LBB17_58:
	s_or_b64 exec, exec, s[0:1]
	s_and_saveexec_b64 s[0:1], s[22:23]
	s_cbranch_execnz .LBB17_80
.LBB17_59:
	s_or_b64 exec, exec, s[0:1]
	s_and_saveexec_b64 s[0:1], s[24:25]
	s_cbranch_execnz .LBB17_81
.LBB17_60:
	s_or_b64 exec, exec, s[0:1]
	s_and_saveexec_b64 s[0:1], s[26:27]
	s_cbranch_execnz .LBB17_82
.LBB17_61:
	s_or_b64 exec, exec, s[0:1]
	s_and_saveexec_b64 s[0:1], s[28:29]
	s_cbranch_execnz .LBB17_83
.LBB17_62:
	s_or_b64 exec, exec, s[0:1]
	s_and_saveexec_b64 s[0:1], s[30:31]
	s_cbranch_execnz .LBB17_84
.LBB17_63:
	s_or_b64 exec, exec, s[0:1]
	s_and_saveexec_b64 s[0:1], s[34:35]
	s_cbranch_execnz .LBB17_85
.LBB17_64:
	s_or_b64 exec, exec, s[0:1]
	s_and_saveexec_b64 s[0:1], s[36:37]
	s_cbranch_execnz .LBB17_86
.LBB17_65:
	s_or_b64 exec, exec, s[0:1]
	s_and_saveexec_b64 s[0:1], s[38:39]
	s_cbranch_execnz .LBB17_87
.LBB17_66:
	s_or_b64 exec, exec, s[0:1]
	s_and_saveexec_b64 s[0:1], s[40:41]
	s_cbranch_execnz .LBB17_88
.LBB17_67:
	s_or_b64 exec, exec, s[0:1]
	s_and_saveexec_b64 s[0:1], s[42:43]
	s_cbranch_execnz .LBB17_89
.LBB17_68:
	s_or_b64 exec, exec, s[0:1]
	s_and_saveexec_b64 s[0:1], s[44:45]
	s_cbranch_execnz .LBB17_90
.LBB17_69:
	s_endpgm
.LBB17_70:
	ds_read_b32 v2, v2
	s_waitcnt lgkmcnt(0)
	global_store_dword v[4:5], v2, off
	s_or_b64 exec, exec, s[0:1]
	s_and_saveexec_b64 s[0:1], s[2:3]
	s_cbranch_execz .LBB17_50
.LBB17_71:
	s_waitcnt lgkmcnt(9)
	global_store_dword v[4:5], v22, off offset:1024
	s_or_b64 exec, exec, s[0:1]
	s_and_saveexec_b64 s[0:1], s[4:5]
	s_cbranch_execz .LBB17_51
.LBB17_72:
	s_waitcnt lgkmcnt(9)
	global_store_dword v[4:5], v23, off offset:2048
	s_or_b64 exec, exec, s[0:1]
	s_and_saveexec_b64 s[0:1], s[6:7]
	s_cbranch_execz .LBB17_52
.LBB17_73:
	s_waitcnt lgkmcnt(8)
	global_store_dword v[4:5], v20, off offset:3072
	s_or_b64 exec, exec, s[0:1]
	s_and_saveexec_b64 s[0:1], s[8:9]
	s_cbranch_execz .LBB17_53
.LBB17_74:
	v_add_co_u32_e32 v2, vcc, 0x1000, v4
	s_nop 1
	v_addc_co_u32_e32 v3, vcc, 0, v5, vcc
	s_waitcnt lgkmcnt(8)
	global_store_dword v[2:3], v21, off
	s_or_b64 exec, exec, s[0:1]
	s_and_saveexec_b64 s[0:1], s[10:11]
	s_cbranch_execz .LBB17_54
.LBB17_75:
	v_add_co_u32_e32 v2, vcc, 0x1000, v4
	s_nop 1
	v_addc_co_u32_e32 v3, vcc, 0, v5, vcc
	s_waitcnt lgkmcnt(7)
	global_store_dword v[2:3], v18, off offset:1024
	s_or_b64 exec, exec, s[0:1]
	s_and_saveexec_b64 s[0:1], s[12:13]
	s_cbranch_execz .LBB17_55
.LBB17_76:
	v_add_co_u32_e32 v2, vcc, 0x1000, v4
	s_nop 1
	v_addc_co_u32_e32 v3, vcc, 0, v5, vcc
	s_waitcnt lgkmcnt(7)
	global_store_dword v[2:3], v19, off offset:2048
	s_or_b64 exec, exec, s[0:1]
	s_and_saveexec_b64 s[0:1], s[14:15]
	s_cbranch_execz .LBB17_56
.LBB17_77:
	v_add_co_u32_e32 v2, vcc, 0x1000, v4
	s_nop 1
	v_addc_co_u32_e32 v3, vcc, 0, v5, vcc
	s_waitcnt lgkmcnt(6)
	global_store_dword v[2:3], v16, off offset:3072
	s_or_b64 exec, exec, s[0:1]
	s_and_saveexec_b64 s[0:1], s[18:19]
	s_cbranch_execz .LBB17_57
.LBB17_78:
	v_add_co_u32_e32 v2, vcc, 0x2000, v4
	s_nop 1
	v_addc_co_u32_e32 v3, vcc, 0, v5, vcc
	s_waitcnt lgkmcnt(6)
	global_store_dword v[2:3], v17, off
	s_or_b64 exec, exec, s[0:1]
	s_and_saveexec_b64 s[0:1], s[20:21]
	s_cbranch_execz .LBB17_58
.LBB17_79:
	v_add_co_u32_e32 v2, vcc, 0x2000, v4
	s_nop 1
	v_addc_co_u32_e32 v3, vcc, 0, v5, vcc
	s_waitcnt lgkmcnt(5)
	global_store_dword v[2:3], v14, off offset:1024
	s_or_b64 exec, exec, s[0:1]
	s_and_saveexec_b64 s[0:1], s[22:23]
	s_cbranch_execz .LBB17_59
.LBB17_80:
	v_add_co_u32_e32 v2, vcc, 0x2000, v4
	s_nop 1
	v_addc_co_u32_e32 v3, vcc, 0, v5, vcc
	s_waitcnt lgkmcnt(5)
	global_store_dword v[2:3], v15, off offset:2048
	s_or_b64 exec, exec, s[0:1]
	s_and_saveexec_b64 s[0:1], s[24:25]
	s_cbranch_execz .LBB17_60
.LBB17_81:
	v_add_co_u32_e32 v2, vcc, 0x2000, v4
	s_nop 1
	v_addc_co_u32_e32 v3, vcc, 0, v5, vcc
	s_waitcnt lgkmcnt(4)
	global_store_dword v[2:3], v12, off offset:3072
	s_or_b64 exec, exec, s[0:1]
	s_and_saveexec_b64 s[0:1], s[26:27]
	s_cbranch_execz .LBB17_61
.LBB17_82:
	v_add_co_u32_e32 v2, vcc, 0x3000, v4
	s_nop 1
	v_addc_co_u32_e32 v3, vcc, 0, v5, vcc
	s_waitcnt lgkmcnt(4)
	global_store_dword v[2:3], v13, off
	s_or_b64 exec, exec, s[0:1]
	s_and_saveexec_b64 s[0:1], s[28:29]
	s_cbranch_execz .LBB17_62
.LBB17_83:
	v_add_co_u32_e32 v2, vcc, 0x3000, v4
	s_nop 1
	v_addc_co_u32_e32 v3, vcc, 0, v5, vcc
	s_waitcnt lgkmcnt(3)
	global_store_dword v[2:3], v10, off offset:1024
	s_or_b64 exec, exec, s[0:1]
	s_and_saveexec_b64 s[0:1], s[30:31]
	s_cbranch_execz .LBB17_63
.LBB17_84:
	v_add_co_u32_e32 v2, vcc, 0x3000, v4
	s_nop 1
	v_addc_co_u32_e32 v3, vcc, 0, v5, vcc
	s_waitcnt lgkmcnt(3)
	global_store_dword v[2:3], v11, off offset:2048
	s_or_b64 exec, exec, s[0:1]
	s_and_saveexec_b64 s[0:1], s[34:35]
	s_cbranch_execz .LBB17_64
.LBB17_85:
	v_add_co_u32_e32 v2, vcc, 0x3000, v4
	s_nop 1
	v_addc_co_u32_e32 v3, vcc, 0, v5, vcc
	s_waitcnt lgkmcnt(2)
	global_store_dword v[2:3], v8, off offset:3072
	s_or_b64 exec, exec, s[0:1]
	s_and_saveexec_b64 s[0:1], s[36:37]
	s_cbranch_execz .LBB17_65
.LBB17_86:
	v_add_co_u32_e32 v2, vcc, 0x4000, v4
	s_nop 1
	v_addc_co_u32_e32 v3, vcc, 0, v5, vcc
	s_waitcnt lgkmcnt(2)
	global_store_dword v[2:3], v9, off
	s_or_b64 exec, exec, s[0:1]
	s_and_saveexec_b64 s[0:1], s[38:39]
	s_cbranch_execz .LBB17_66
.LBB17_87:
	v_add_co_u32_e32 v2, vcc, 0x4000, v4
	s_nop 1
	v_addc_co_u32_e32 v3, vcc, 0, v5, vcc
	s_waitcnt lgkmcnt(1)
	global_store_dword v[2:3], v6, off offset:1024
	s_or_b64 exec, exec, s[0:1]
	s_and_saveexec_b64 s[0:1], s[40:41]
	s_cbranch_execz .LBB17_67
.LBB17_88:
	v_add_co_u32_e32 v2, vcc, 0x4000, v4
	s_nop 1
	v_addc_co_u32_e32 v3, vcc, 0, v5, vcc
	s_waitcnt lgkmcnt(1)
	global_store_dword v[2:3], v7, off offset:2048
	s_or_b64 exec, exec, s[0:1]
	s_and_saveexec_b64 s[0:1], s[42:43]
	s_cbranch_execz .LBB17_68
.LBB17_89:
	v_add_co_u32_e32 v2, vcc, 0x4000, v4
	s_nop 1
	v_addc_co_u32_e32 v3, vcc, 0, v5, vcc
	s_waitcnt lgkmcnt(0)
	global_store_dword v[2:3], v0, off offset:3072
	s_or_b64 exec, exec, s[0:1]
	s_and_saveexec_b64 s[0:1], s[44:45]
	s_cbranch_execz .LBB17_69
.LBB17_90:
	v_add_co_u32_e32 v2, vcc, 0x5000, v4
	s_nop 1
	v_addc_co_u32_e32 v3, vcc, 0, v5, vcc
	s_waitcnt lgkmcnt(0)
	global_store_dword v[2:3], v1, off
	s_endpgm
	.section	.rodata,"a",@progbits
	.p2align	6, 0x0
	.amdhsa_kernel _ZN7rocprim17ROCPRIM_304000_NS6detail18single_scan_kernelILb1ENS1_19wrapped_scan_configINS0_14default_configEiEEPKiPiN2at4cuda3cub12_GLOBAL__N_15SumOpIiEEiiEEvT1_mT4_T2_T3_
		.amdhsa_group_segment_fixed_size 21504
		.amdhsa_private_segment_fixed_size 0
		.amdhsa_kernarg_size 36
		.amdhsa_user_sgpr_count 2
		.amdhsa_user_sgpr_dispatch_ptr 0
		.amdhsa_user_sgpr_queue_ptr 0
		.amdhsa_user_sgpr_kernarg_segment_ptr 1
		.amdhsa_user_sgpr_dispatch_id 0
		.amdhsa_user_sgpr_kernarg_preload_length 0
		.amdhsa_user_sgpr_kernarg_preload_offset 0
		.amdhsa_user_sgpr_private_segment_size 0
		.amdhsa_uses_dynamic_stack 0
		.amdhsa_enable_private_segment 0
		.amdhsa_system_sgpr_workgroup_id_x 1
		.amdhsa_system_sgpr_workgroup_id_y 0
		.amdhsa_system_sgpr_workgroup_id_z 0
		.amdhsa_system_sgpr_workgroup_info 0
		.amdhsa_system_vgpr_workitem_id 0
		.amdhsa_next_free_vgpr 28
		.amdhsa_next_free_sgpr 48
		.amdhsa_accum_offset 28
		.amdhsa_reserve_vcc 1
		.amdhsa_float_round_mode_32 0
		.amdhsa_float_round_mode_16_64 0
		.amdhsa_float_denorm_mode_32 3
		.amdhsa_float_denorm_mode_16_64 3
		.amdhsa_dx10_clamp 1
		.amdhsa_ieee_mode 1
		.amdhsa_fp16_overflow 0
		.amdhsa_tg_split 0
		.amdhsa_exception_fp_ieee_invalid_op 0
		.amdhsa_exception_fp_denorm_src 0
		.amdhsa_exception_fp_ieee_div_zero 0
		.amdhsa_exception_fp_ieee_overflow 0
		.amdhsa_exception_fp_ieee_underflow 0
		.amdhsa_exception_fp_ieee_inexact 0
		.amdhsa_exception_int_div_zero 0
	.end_amdhsa_kernel
	.section	.text._ZN7rocprim17ROCPRIM_304000_NS6detail18single_scan_kernelILb1ENS1_19wrapped_scan_configINS0_14default_configEiEEPKiPiN2at4cuda3cub12_GLOBAL__N_15SumOpIiEEiiEEvT1_mT4_T2_T3_,"axG",@progbits,_ZN7rocprim17ROCPRIM_304000_NS6detail18single_scan_kernelILb1ENS1_19wrapped_scan_configINS0_14default_configEiEEPKiPiN2at4cuda3cub12_GLOBAL__N_15SumOpIiEEiiEEvT1_mT4_T2_T3_,comdat
.Lfunc_end17:
	.size	_ZN7rocprim17ROCPRIM_304000_NS6detail18single_scan_kernelILb1ENS1_19wrapped_scan_configINS0_14default_configEiEEPKiPiN2at4cuda3cub12_GLOBAL__N_15SumOpIiEEiiEEvT1_mT4_T2_T3_, .Lfunc_end17-_ZN7rocprim17ROCPRIM_304000_NS6detail18single_scan_kernelILb1ENS1_19wrapped_scan_configINS0_14default_configEiEEPKiPiN2at4cuda3cub12_GLOBAL__N_15SumOpIiEEiiEEvT1_mT4_T2_T3_
                                        ; -- End function
	.section	.AMDGPU.csdata,"",@progbits
; Kernel info:
; codeLenInByte = 3200
; NumSgprs: 54
; NumVgprs: 28
; NumAgprs: 0
; TotalNumVgprs: 28
; ScratchSize: 0
; MemoryBound: 0
; FloatMode: 240
; IeeeMode: 1
; LDSByteSize: 21504 bytes/workgroup (compile time only)
; SGPRBlocks: 6
; VGPRBlocks: 3
; NumSGPRsForWavesPerEU: 54
; NumVGPRsForWavesPerEU: 28
; AccumOffset: 28
; Occupancy: 3
; WaveLimiterHint : 0
; COMPUTE_PGM_RSRC2:SCRATCH_EN: 0
; COMPUTE_PGM_RSRC2:USER_SGPR: 2
; COMPUTE_PGM_RSRC2:TRAP_HANDLER: 0
; COMPUTE_PGM_RSRC2:TGID_X_EN: 1
; COMPUTE_PGM_RSRC2:TGID_Y_EN: 0
; COMPUTE_PGM_RSRC2:TGID_Z_EN: 0
; COMPUTE_PGM_RSRC2:TIDIG_COMP_CNT: 0
; COMPUTE_PGM_RSRC3_GFX90A:ACCUM_OFFSET: 6
; COMPUTE_PGM_RSRC3_GFX90A:TG_SPLIT: 0
	.section	.text._ZN7rocprim17ROCPRIM_304000_NS6detail20lookback_scan_kernelILNS1_25lookback_scan_determinismE0ELb1ENS1_19wrapped_scan_configINS0_14default_configElEEPKlPlN2at4cuda3cub12_GLOBAL__N_15SumOpIlEEllNS1_19lookback_scan_stateIlLb1ELb1EEEEEvT2_T3_mT5_T4_T7_jPT6_SO_bb,"axG",@progbits,_ZN7rocprim17ROCPRIM_304000_NS6detail20lookback_scan_kernelILNS1_25lookback_scan_determinismE0ELb1ENS1_19wrapped_scan_configINS0_14default_configElEEPKlPlN2at4cuda3cub12_GLOBAL__N_15SumOpIlEEllNS1_19lookback_scan_stateIlLb1ELb1EEEEEvT2_T3_mT5_T4_T7_jPT6_SO_bb,comdat
	.globl	_ZN7rocprim17ROCPRIM_304000_NS6detail20lookback_scan_kernelILNS1_25lookback_scan_determinismE0ELb1ENS1_19wrapped_scan_configINS0_14default_configElEEPKlPlN2at4cuda3cub12_GLOBAL__N_15SumOpIlEEllNS1_19lookback_scan_stateIlLb1ELb1EEEEEvT2_T3_mT5_T4_T7_jPT6_SO_bb ; -- Begin function _ZN7rocprim17ROCPRIM_304000_NS6detail20lookback_scan_kernelILNS1_25lookback_scan_determinismE0ELb1ENS1_19wrapped_scan_configINS0_14default_configElEEPKlPlN2at4cuda3cub12_GLOBAL__N_15SumOpIlEEllNS1_19lookback_scan_stateIlLb1ELb1EEEEEvT2_T3_mT5_T4_T7_jPT6_SO_bb
	.p2align	8
	.type	_ZN7rocprim17ROCPRIM_304000_NS6detail20lookback_scan_kernelILNS1_25lookback_scan_determinismE0ELb1ENS1_19wrapped_scan_configINS0_14default_configElEEPKlPlN2at4cuda3cub12_GLOBAL__N_15SumOpIlEEllNS1_19lookback_scan_stateIlLb1ELb1EEEEEvT2_T3_mT5_T4_T7_jPT6_SO_bb,@function
_ZN7rocprim17ROCPRIM_304000_NS6detail20lookback_scan_kernelILNS1_25lookback_scan_determinismE0ELb1ENS1_19wrapped_scan_configINS0_14default_configElEEPKlPlN2at4cuda3cub12_GLOBAL__N_15SumOpIlEEllNS1_19lookback_scan_stateIlLb1ELb1EEEEEvT2_T3_mT5_T4_T7_jPT6_SO_bb: ; @_ZN7rocprim17ROCPRIM_304000_NS6detail20lookback_scan_kernelILNS1_25lookback_scan_determinismE0ELb1ENS1_19wrapped_scan_configINS0_14default_configElEEPKlPlN2at4cuda3cub12_GLOBAL__N_15SumOpIlEEllNS1_19lookback_scan_stateIlLb1ELb1EEEEEvT2_T3_mT5_T4_T7_jPT6_SO_bb
; %bb.0:
	s_endpgm
	.section	.rodata,"a",@progbits
	.p2align	6, 0x0
	.amdhsa_kernel _ZN7rocprim17ROCPRIM_304000_NS6detail20lookback_scan_kernelILNS1_25lookback_scan_determinismE0ELb1ENS1_19wrapped_scan_configINS0_14default_configElEEPKlPlN2at4cuda3cub12_GLOBAL__N_15SumOpIlEEllNS1_19lookback_scan_stateIlLb1ELb1EEEEEvT2_T3_mT5_T4_T7_jPT6_SO_bb
		.amdhsa_group_segment_fixed_size 0
		.amdhsa_private_segment_fixed_size 0
		.amdhsa_kernarg_size 76
		.amdhsa_user_sgpr_count 2
		.amdhsa_user_sgpr_dispatch_ptr 0
		.amdhsa_user_sgpr_queue_ptr 0
		.amdhsa_user_sgpr_kernarg_segment_ptr 1
		.amdhsa_user_sgpr_dispatch_id 0
		.amdhsa_user_sgpr_kernarg_preload_length 0
		.amdhsa_user_sgpr_kernarg_preload_offset 0
		.amdhsa_user_sgpr_private_segment_size 0
		.amdhsa_uses_dynamic_stack 0
		.amdhsa_enable_private_segment 0
		.amdhsa_system_sgpr_workgroup_id_x 1
		.amdhsa_system_sgpr_workgroup_id_y 0
		.amdhsa_system_sgpr_workgroup_id_z 0
		.amdhsa_system_sgpr_workgroup_info 0
		.amdhsa_system_vgpr_workitem_id 0
		.amdhsa_next_free_vgpr 1
		.amdhsa_next_free_sgpr 0
		.amdhsa_accum_offset 4
		.amdhsa_reserve_vcc 0
		.amdhsa_float_round_mode_32 0
		.amdhsa_float_round_mode_16_64 0
		.amdhsa_float_denorm_mode_32 3
		.amdhsa_float_denorm_mode_16_64 3
		.amdhsa_dx10_clamp 1
		.amdhsa_ieee_mode 1
		.amdhsa_fp16_overflow 0
		.amdhsa_tg_split 0
		.amdhsa_exception_fp_ieee_invalid_op 0
		.amdhsa_exception_fp_denorm_src 0
		.amdhsa_exception_fp_ieee_div_zero 0
		.amdhsa_exception_fp_ieee_overflow 0
		.amdhsa_exception_fp_ieee_underflow 0
		.amdhsa_exception_fp_ieee_inexact 0
		.amdhsa_exception_int_div_zero 0
	.end_amdhsa_kernel
	.section	.text._ZN7rocprim17ROCPRIM_304000_NS6detail20lookback_scan_kernelILNS1_25lookback_scan_determinismE0ELb1ENS1_19wrapped_scan_configINS0_14default_configElEEPKlPlN2at4cuda3cub12_GLOBAL__N_15SumOpIlEEllNS1_19lookback_scan_stateIlLb1ELb1EEEEEvT2_T3_mT5_T4_T7_jPT6_SO_bb,"axG",@progbits,_ZN7rocprim17ROCPRIM_304000_NS6detail20lookback_scan_kernelILNS1_25lookback_scan_determinismE0ELb1ENS1_19wrapped_scan_configINS0_14default_configElEEPKlPlN2at4cuda3cub12_GLOBAL__N_15SumOpIlEEllNS1_19lookback_scan_stateIlLb1ELb1EEEEEvT2_T3_mT5_T4_T7_jPT6_SO_bb,comdat
.Lfunc_end18:
	.size	_ZN7rocprim17ROCPRIM_304000_NS6detail20lookback_scan_kernelILNS1_25lookback_scan_determinismE0ELb1ENS1_19wrapped_scan_configINS0_14default_configElEEPKlPlN2at4cuda3cub12_GLOBAL__N_15SumOpIlEEllNS1_19lookback_scan_stateIlLb1ELb1EEEEEvT2_T3_mT5_T4_T7_jPT6_SO_bb, .Lfunc_end18-_ZN7rocprim17ROCPRIM_304000_NS6detail20lookback_scan_kernelILNS1_25lookback_scan_determinismE0ELb1ENS1_19wrapped_scan_configINS0_14default_configElEEPKlPlN2at4cuda3cub12_GLOBAL__N_15SumOpIlEEllNS1_19lookback_scan_stateIlLb1ELb1EEEEEvT2_T3_mT5_T4_T7_jPT6_SO_bb
                                        ; -- End function
	.section	.AMDGPU.csdata,"",@progbits
; Kernel info:
; codeLenInByte = 4
; NumSgprs: 6
; NumVgprs: 0
; NumAgprs: 0
; TotalNumVgprs: 0
; ScratchSize: 0
; MemoryBound: 0
; FloatMode: 240
; IeeeMode: 1
; LDSByteSize: 0 bytes/workgroup (compile time only)
; SGPRBlocks: 0
; VGPRBlocks: 0
; NumSGPRsForWavesPerEU: 6
; NumVGPRsForWavesPerEU: 1
; AccumOffset: 4
; Occupancy: 8
; WaveLimiterHint : 0
; COMPUTE_PGM_RSRC2:SCRATCH_EN: 0
; COMPUTE_PGM_RSRC2:USER_SGPR: 2
; COMPUTE_PGM_RSRC2:TRAP_HANDLER: 0
; COMPUTE_PGM_RSRC2:TGID_X_EN: 1
; COMPUTE_PGM_RSRC2:TGID_Y_EN: 0
; COMPUTE_PGM_RSRC2:TGID_Z_EN: 0
; COMPUTE_PGM_RSRC2:TIDIG_COMP_CNT: 0
; COMPUTE_PGM_RSRC3_GFX90A:ACCUM_OFFSET: 0
; COMPUTE_PGM_RSRC3_GFX90A:TG_SPLIT: 0
	.section	.text._ZN7rocprim17ROCPRIM_304000_NS6detail20lookback_scan_kernelILNS1_25lookback_scan_determinismE0ELb1ENS1_19wrapped_scan_configINS0_14default_configElEEPKlPlN2at4cuda3cub12_GLOBAL__N_15SumOpIlEEllNS1_19lookback_scan_stateIlLb0ELb1EEEEEvT2_T3_mT5_T4_T7_jPT6_SO_bb,"axG",@progbits,_ZN7rocprim17ROCPRIM_304000_NS6detail20lookback_scan_kernelILNS1_25lookback_scan_determinismE0ELb1ENS1_19wrapped_scan_configINS0_14default_configElEEPKlPlN2at4cuda3cub12_GLOBAL__N_15SumOpIlEEllNS1_19lookback_scan_stateIlLb0ELb1EEEEEvT2_T3_mT5_T4_T7_jPT6_SO_bb,comdat
	.globl	_ZN7rocprim17ROCPRIM_304000_NS6detail20lookback_scan_kernelILNS1_25lookback_scan_determinismE0ELb1ENS1_19wrapped_scan_configINS0_14default_configElEEPKlPlN2at4cuda3cub12_GLOBAL__N_15SumOpIlEEllNS1_19lookback_scan_stateIlLb0ELb1EEEEEvT2_T3_mT5_T4_T7_jPT6_SO_bb ; -- Begin function _ZN7rocprim17ROCPRIM_304000_NS6detail20lookback_scan_kernelILNS1_25lookback_scan_determinismE0ELb1ENS1_19wrapped_scan_configINS0_14default_configElEEPKlPlN2at4cuda3cub12_GLOBAL__N_15SumOpIlEEllNS1_19lookback_scan_stateIlLb0ELb1EEEEEvT2_T3_mT5_T4_T7_jPT6_SO_bb
	.p2align	8
	.type	_ZN7rocprim17ROCPRIM_304000_NS6detail20lookback_scan_kernelILNS1_25lookback_scan_determinismE0ELb1ENS1_19wrapped_scan_configINS0_14default_configElEEPKlPlN2at4cuda3cub12_GLOBAL__N_15SumOpIlEEllNS1_19lookback_scan_stateIlLb0ELb1EEEEEvT2_T3_mT5_T4_T7_jPT6_SO_bb,@function
_ZN7rocprim17ROCPRIM_304000_NS6detail20lookback_scan_kernelILNS1_25lookback_scan_determinismE0ELb1ENS1_19wrapped_scan_configINS0_14default_configElEEPKlPlN2at4cuda3cub12_GLOBAL__N_15SumOpIlEEllNS1_19lookback_scan_stateIlLb0ELb1EEEEEvT2_T3_mT5_T4_T7_jPT6_SO_bb: ; @_ZN7rocprim17ROCPRIM_304000_NS6detail20lookback_scan_kernelILNS1_25lookback_scan_determinismE0ELb1ENS1_19wrapped_scan_configINS0_14default_configElEEPKlPlN2at4cuda3cub12_GLOBAL__N_15SumOpIlEEllNS1_19lookback_scan_stateIlLb0ELb1EEEEEvT2_T3_mT5_T4_T7_jPT6_SO_bb
; %bb.0:
	s_load_dword s3, s[0:1], 0x30
	s_load_dwordx8 s[16:23], s[0:1], 0x0
	s_mul_i32 s4, s2, 0xf00
	s_mov_b32 s5, 0
	v_lshlrev_b32_e32 v62, 3, v0
	s_waitcnt lgkmcnt(0)
	s_add_i32 s3, s3, -1
	s_mul_i32 s6, s3, 0xf00
	s_sub_u32 s28, s20, s6
	s_subb_u32 s29, s21, 0
	s_cmp_lg_u32 s2, s3
	s_cselect_b64 s[14:15], -1, 0
	s_lshl_b64 s[20:21], s[4:5], 3
	s_add_u32 s6, s16, s20
	s_addc_u32 s7, s17, s21
	s_mov_b64 s[4:5], -1
	s_and_b64 vcc, exec, s[14:15]
	s_cbranch_vccz .LBB19_2
; %bb.1:
	v_mov_b32_e32 v63, 0
	v_lshl_add_u64 v[2:3], s[6:7], 0, v[62:63]
	v_add_co_u32_e32 v8, vcc, 0x1000, v2
	global_load_dwordx2 v[4:5], v62, s[6:7]
	global_load_dwordx2 v[6:7], v62, s[6:7] offset:2048
	v_addc_co_u32_e32 v9, vcc, 0, v3, vcc
	v_add_co_u32_e32 v10, vcc, 0x2000, v2
	s_mov_b64 s[4:5], 0
	s_nop 0
	v_addc_co_u32_e32 v11, vcc, 0, v3, vcc
	global_load_dwordx2 v[12:13], v[8:9], off
	global_load_dwordx2 v[14:15], v[8:9], off offset:2048
	global_load_dwordx2 v[16:17], v[10:11], off
	global_load_dwordx2 v[18:19], v[10:11], off offset:2048
	v_add_co_u32_e32 v8, vcc, 0x3000, v2
	s_nop 1
	v_addc_co_u32_e32 v9, vcc, 0, v3, vcc
	v_add_co_u32_e32 v10, vcc, 0x4000, v2
	s_nop 1
	v_addc_co_u32_e32 v11, vcc, 0, v3, vcc
	global_load_dwordx2 v[20:21], v[8:9], off
	global_load_dwordx2 v[22:23], v[8:9], off offset:2048
	global_load_dwordx2 v[24:25], v[10:11], off
	global_load_dwordx2 v[26:27], v[10:11], off offset:2048
	v_add_co_u32_e32 v8, vcc, 0x5000, v2
	s_nop 1
	v_addc_co_u32_e32 v9, vcc, 0, v3, vcc
	v_add_co_u32_e32 v10, vcc, 0x6000, v2
	s_nop 1
	v_addc_co_u32_e32 v11, vcc, 0, v3, vcc
	global_load_dwordx2 v[28:29], v[8:9], off
	global_load_dwordx2 v[30:31], v[8:9], off offset:2048
	global_load_dwordx2 v[32:33], v[10:11], off
	global_load_dwordx2 v[34:35], v[10:11], off offset:2048
	v_add_co_u32_e32 v2, vcc, 0x7000, v2
	s_nop 1
	v_addc_co_u32_e32 v3, vcc, 0, v3, vcc
	global_load_dwordx2 v[2:3], v[2:3], off
	s_waitcnt vmcnt(13)
	ds_write2st64_b64 v62, v[4:5], v[6:7] offset1:4
	s_waitcnt vmcnt(11)
	ds_write2st64_b64 v62, v[12:13], v[14:15] offset0:8 offset1:12
	s_waitcnt vmcnt(9)
	ds_write2st64_b64 v62, v[16:17], v[18:19] offset0:16 offset1:20
	;; [unrolled: 2-line block ×6, first 2 shown]
	s_waitcnt vmcnt(0)
	ds_write_b64 v62, v[2:3] offset:28672
	s_waitcnt lgkmcnt(0)
	s_barrier
.LBB19_2:
	s_andn2_b64 vcc, exec, s[4:5]
	v_cmp_gt_u32_e64 s[4:5], s28, v0
	s_cbranch_vccnz .LBB19_34
; %bb.3:
	s_load_dwordx2 s[36:37], s[6:7], 0x0
	v_mov_b32_e32 v63, 0
	v_lshl_add_u64 v[34:35], s[6:7], 0, v[62:63]
	s_waitcnt lgkmcnt(0)
	s_mov_b32 s38, s36
	s_mov_b32 s39, s37
	;; [unrolled: 1-line block ×28, first 2 shown]
	v_mov_b64_e32 v[2:3], s[36:37]
	v_mov_b64_e32 v[4:5], s[38:39]
	;; [unrolled: 1-line block ×16, first 2 shown]
	s_and_saveexec_b64 s[6:7], s[4:5]
	s_cbranch_execz .LBB19_5
; %bb.4:
	global_load_dwordx2 v[2:3], v[34:35], off
	v_mov_b32_e32 v4, s36
	v_mov_b32_e32 v5, s37
	;; [unrolled: 1-line block ×28, first 2 shown]
.LBB19_5:
	s_or_b64 exec, exec, s[6:7]
	v_or_b32_e32 v1, 0x100, v0
	v_cmp_gt_u32_e32 vcc, s28, v1
	s_and_saveexec_b64 s[4:5], vcc
	s_cbranch_execz .LBB19_7
; %bb.6:
	global_load_dwordx2 v[4:5], v[34:35], off offset:2048
.LBB19_7:
	s_or_b64 exec, exec, s[4:5]
	v_or_b32_e32 v1, 0x200, v0
	v_cmp_gt_u32_e32 vcc, s28, v1
	s_and_saveexec_b64 s[4:5], vcc
	s_cbranch_execz .LBB19_9
; %bb.8:
	v_add_co_u32_e32 v6, vcc, 0x1000, v34
	s_nop 1
	v_addc_co_u32_e32 v7, vcc, 0, v35, vcc
	global_load_dwordx2 v[6:7], v[6:7], off
.LBB19_9:
	s_or_b64 exec, exec, s[4:5]
	v_or_b32_e32 v1, 0x300, v0
	v_cmp_gt_u32_e32 vcc, s28, v1
	s_and_saveexec_b64 s[4:5], vcc
	s_cbranch_execz .LBB19_11
; %bb.10:
	v_add_co_u32_e32 v8, vcc, 0x1000, v34
	s_nop 1
	v_addc_co_u32_e32 v9, vcc, 0, v35, vcc
	global_load_dwordx2 v[8:9], v[8:9], off offset:2048
.LBB19_11:
	s_or_b64 exec, exec, s[4:5]
	v_or_b32_e32 v1, 0x400, v0
	v_cmp_gt_u32_e32 vcc, s28, v1
	s_and_saveexec_b64 s[4:5], vcc
	s_cbranch_execz .LBB19_13
; %bb.12:
	v_add_co_u32_e32 v10, vcc, 0x2000, v34
	s_nop 1
	v_addc_co_u32_e32 v11, vcc, 0, v35, vcc
	global_load_dwordx2 v[10:11], v[10:11], off
.LBB19_13:
	s_or_b64 exec, exec, s[4:5]
	v_or_b32_e32 v1, 0x500, v0
	v_cmp_gt_u32_e32 vcc, s28, v1
	s_and_saveexec_b64 s[4:5], vcc
	s_cbranch_execz .LBB19_15
; %bb.14:
	v_add_co_u32_e32 v12, vcc, 0x2000, v34
	s_nop 1
	v_addc_co_u32_e32 v13, vcc, 0, v35, vcc
	global_load_dwordx2 v[12:13], v[12:13], off offset:2048
.LBB19_15:
	;; [unrolled: 22-line block ×6, first 2 shown]
	s_or_b64 exec, exec, s[4:5]
	v_or_b32_e32 v1, 0xe00, v0
	v_cmp_gt_u32_e32 vcc, s28, v1
	s_and_saveexec_b64 s[4:5], vcc
	s_cbranch_execz .LBB19_33
; %bb.32:
	v_add_co_u32_e32 v30, vcc, 0x7000, v34
	s_nop 1
	v_addc_co_u32_e32 v31, vcc, 0, v35, vcc
	global_load_dwordx2 v[30:31], v[30:31], off
.LBB19_33:
	s_or_b64 exec, exec, s[4:5]
	s_waitcnt vmcnt(0)
	ds_write2st64_b64 v62, v[2:3], v[4:5] offset1:4
	ds_write2st64_b64 v62, v[6:7], v[8:9] offset0:8 offset1:12
	ds_write2st64_b64 v62, v[10:11], v[12:13] offset0:16 offset1:20
	;; [unrolled: 1-line block ×6, first 2 shown]
	ds_write_b64 v62, v[30:31] offset:28672
	s_waitcnt lgkmcnt(0)
	s_barrier
.LBB19_34:
	s_load_dwordx2 s[24:25], s[0:1], 0x28
	v_mul_u32_u24_e32 v68, 15, v0
	v_lshlrev_b32_e32 v1, 3, v68
	s_waitcnt lgkmcnt(0)
	ds_read2_b64 v[34:37], v1 offset1:1
	ds_read2_b64 v[38:41], v1 offset0:2 offset1:3
	ds_read2_b64 v[42:45], v1 offset0:4 offset1:5
	;; [unrolled: 1-line block ×6, first 2 shown]
	ds_read_b64 v[64:65], v1 offset:112
	s_waitcnt lgkmcnt(7)
	v_lshl_add_u64 v[2:3], v[36:37], 0, v[34:35]
	s_cmp_lg_u32 s2, 0
	s_waitcnt lgkmcnt(6)
	v_lshl_add_u64 v[66:67], v[2:3], 0, v[38:39]
	v_lshrrev_b32_e32 v1, 5, v0
	v_cmp_gt_u32_e32 vcc, 64, v0
	s_waitcnt lgkmcnt(0)
	s_barrier
	s_cbranch_scc0 .LBB19_59
; %bb.35:
	v_lshl_add_u64 v[2:3], v[66:67], 0, v[40:41]
	v_lshl_add_u64 v[2:3], v[2:3], 0, v[42:43]
	;; [unrolled: 1-line block ×12, first 2 shown]
	v_add_lshl_u32 v4, v1, v0, 3
	ds_write_b64 v4, v[2:3]
	s_waitcnt lgkmcnt(0)
	s_barrier
	s_and_saveexec_b64 s[6:7], vcc
	s_cbranch_execz .LBB19_37
; %bb.36:
	v_lshlrev_b32_e32 v4, 2, v0
	v_lshrrev_b32_e32 v5, 3, v0
	v_add_lshl_u32 v20, v5, v4, 3
	ds_read2_b64 v[4:7], v20 offset1:1
	ds_read2_b64 v[8:11], v20 offset0:2 offset1:3
	v_mbcnt_lo_u32_b32 v13, -1, 0
	v_mov_b32_e32 v12, 0
	v_mbcnt_hi_u32_b32 v21, -1, v13
	s_waitcnt lgkmcnt(1)
	v_lshl_add_u64 v[14:15], v[6:7], 0, v[4:5]
	s_waitcnt lgkmcnt(0)
	v_lshl_add_u64 v[14:15], v[14:15], 0, v[8:9]
	v_lshl_add_u64 v[14:15], v[14:15], 0, v[10:11]
	v_and_b32_e32 v22, 15, v21
	v_mov_b32_e32 v17, v12
	v_mov_b32_dpp v16, v14 row_shr:1 row_mask:0xf bank_mask:0xf
	v_mov_b32_dpp v13, v15 row_shr:1 row_mask:0xf bank_mask:0xf
	v_lshl_add_u64 v[16:17], v[14:15], 0, v[16:17]
	v_cmp_eq_u32_e64 s[4:5], 0, v22
	v_lshl_add_u64 v[18:19], v[12:13], 0, v[16:17]
	v_mov_b32_e32 v17, v12
	v_cndmask_b32_e64 v23, v16, v14, s[4:5]
	v_cndmask_b32_e64 v15, v19, v15, s[4:5]
	v_cndmask_b32_e64 v14, v18, v14, s[4:5]
	v_mov_b32_dpp v16, v23 row_shr:2 row_mask:0xf bank_mask:0xf
	v_mov_b32_dpp v13, v15 row_shr:2 row_mask:0xf bank_mask:0xf
	v_lshl_add_u64 v[16:17], v[14:15], 0, v[16:17]
	v_cmp_lt_u32_e64 s[4:5], 1, v22
	v_lshl_add_u64 v[18:19], v[16:17], 0, v[12:13]
	v_mov_b32_e32 v17, v12
	v_cndmask_b32_e64 v23, v23, v16, s[4:5]
	v_cndmask_b32_e64 v15, v15, v19, s[4:5]
	v_cndmask_b32_e64 v14, v14, v18, s[4:5]
	v_mov_b32_dpp v16, v23 row_shr:4 row_mask:0xf bank_mask:0xf
	v_mov_b32_dpp v13, v15 row_shr:4 row_mask:0xf bank_mask:0xf
	v_lshl_add_u64 v[16:17], v[14:15], 0, v[16:17]
	v_cmp_lt_u32_e64 s[4:5], 3, v22
	;; [unrolled: 9-line block ×3, first 2 shown]
	v_lshl_add_u64 v[18:19], v[16:17], 0, v[12:13]
	v_mov_b32_e32 v17, v12
	v_cndmask_b32_e64 v22, v23, v16, s[4:5]
	v_cndmask_b32_e64 v15, v15, v19, s[4:5]
	;; [unrolled: 1-line block ×3, first 2 shown]
	v_mov_b32_dpp v16, v22 row_bcast:15 row_mask:0xf bank_mask:0xf
	v_and_b32_e32 v23, 16, v21
	v_mov_b32_dpp v13, v15 row_bcast:15 row_mask:0xf bank_mask:0xf
	v_lshl_add_u64 v[16:17], v[14:15], 0, v[16:17]
	v_cmp_eq_u32_e64 s[4:5], 0, v23
	v_lshl_add_u64 v[18:19], v[16:17], 0, v[12:13]
	v_mov_b32_e32 v17, v12
	v_cndmask_b32_e64 v13, v16, v22, s[4:5]
	v_cndmask_b32_e64 v15, v19, v15, s[4:5]
	v_cndmask_b32_e64 v14, v18, v14, s[4:5]
	v_mov_b32_dpp v16, v13 row_bcast:31 row_mask:0xf bank_mask:0xf
	v_mov_b32_dpp v18, v15 row_bcast:31 row_mask:0xf bank_mask:0xf
	v_lshl_add_u64 v[16:17], v[14:15], 0, v[16:17]
	v_add_u32_e32 v14, v18, v17
	v_cmp_lt_u32_e64 s[4:5], 31, v21
	s_nop 1
	v_cndmask_b32_e64 v13, v13, v16, s[4:5]
	v_cndmask_b32_e64 v15, v15, v14, s[4:5]
	v_add_u32_e32 v14, -1, v21
	v_and_b32_e32 v16, 64, v21
	v_cmp_lt_i32_e64 s[4:5], v14, v16
	s_nop 1
	v_cndmask_b32_e64 v14, v14, v21, s[4:5]
	v_lshlrev_b32_e32 v16, 2, v14
	ds_bpermute_b32 v14, v16, v13
	ds_bpermute_b32 v13, v16, v15
	v_mov_b32_e32 v15, v12
	v_cmp_eq_u32_e64 s[4:5], 0, v0
	s_waitcnt lgkmcnt(1)
	v_lshl_add_u64 v[4:5], v[4:5], 0, v[14:15]
	s_waitcnt lgkmcnt(0)
	v_lshl_add_u64 v[4:5], v[4:5], 0, v[12:13]
	v_cndmask_b32_e64 v3, v5, v3, s[4:5]
	v_cndmask_b32_e64 v2, v4, v2, s[4:5]
	v_lshl_add_u64 v[4:5], v[2:3], 0, v[6:7]
	ds_write2_b64 v20, v[2:3], v[4:5] offset1:1
	v_lshl_add_u64 v[2:3], v[4:5], 0, v[8:9]
	v_lshl_add_u64 v[4:5], v[2:3], 0, v[10:11]
	ds_write2_b64 v20, v[2:3], v[4:5] offset0:2 offset1:3
.LBB19_37:
	s_or_b64 exec, exec, s[6:7]
	v_cmp_eq_u32_e64 s[6:7], 0, v0
	v_cmp_ne_u32_e64 s[4:5], 0, v0
	v_mov_b64_e32 v[10:11], 0
	s_waitcnt lgkmcnt(0)
	s_barrier
	s_and_saveexec_b64 s[8:9], s[4:5]
	s_cbranch_execz .LBB19_39
; %bb.38:
	v_add_u32_e32 v2, -1, v0
	v_lshrrev_b32_e32 v3, 5, v2
	v_add_lshl_u32 v2, v3, v2, 3
	ds_read_b64 v[10:11], v2
.LBB19_39:
	s_or_b64 exec, exec, s[8:9]
	s_and_saveexec_b64 s[26:27], vcc
	s_cbranch_execz .LBB19_58
; %bb.40:
	v_mov_b32_e32 v5, 0
	ds_read_b64 v[2:3], v5 offset:2096
	v_mbcnt_lo_u32_b32 v4, -1, 0
	v_mbcnt_hi_u32_b32 v16, -1, v4
	s_mov_b32 s11, 0
	v_cmp_eq_u32_e64 s[4:5], 0, v16
	s_and_saveexec_b64 s[8:9], s[4:5]
	s_cbranch_execz .LBB19_42
; %bb.41:
	s_add_i32 s10, s2, 64
	s_lshl_b64 s[10:11], s[10:11], 4
	s_add_u32 s10, s24, s10
	s_addc_u32 s11, s25, s11
	v_mov_b32_e32 v4, 1
	v_mov_b64_e32 v[6:7], s[10:11]
	s_waitcnt lgkmcnt(0)
	;;#ASMSTART
	global_store_dwordx4 v[6:7], v[2:5] off sc1	
s_waitcnt vmcnt(0)
	;;#ASMEND
.LBB19_42:
	s_or_b64 exec, exec, s[8:9]
	v_xad_u32 v12, v16, -1, s2
	v_add_u32_e32 v4, 64, v12
	v_lshl_add_u64 v[14:15], v[4:5], 4, s[24:25]
	;;#ASMSTART
	global_load_dwordx4 v[6:9], v[14:15] off sc1	
s_waitcnt vmcnt(0)
	;;#ASMEND
	s_nop 0
	v_cmp_eq_u16_sdwa s[10:11], v8, v5 src0_sel:BYTE_0 src1_sel:DWORD
	s_and_saveexec_b64 s[8:9], s[10:11]
	s_cbranch_execz .LBB19_46
; %bb.43:
	s_mov_b64 s[10:11], 0
	v_mov_b32_e32 v4, 0
.LBB19_44:                              ; =>This Inner Loop Header: Depth=1
	;;#ASMSTART
	global_load_dwordx4 v[6:9], v[14:15] off sc1	
s_waitcnt vmcnt(0)
	;;#ASMEND
	s_nop 0
	v_cmp_ne_u16_sdwa s[12:13], v8, v4 src0_sel:BYTE_0 src1_sel:DWORD
	s_or_b64 s[10:11], s[12:13], s[10:11]
	s_andn2_b64 exec, exec, s[10:11]
	s_cbranch_execnz .LBB19_44
; %bb.45:
	s_or_b64 exec, exec, s[10:11]
.LBB19_46:
	s_or_b64 exec, exec, s[8:9]
	v_and_b32_e32 v17, 63, v16
	v_mov_b32_e32 v18, 2
	v_cmp_ne_u32_e32 vcc, 63, v17
	v_cmp_eq_u16_sdwa s[8:9], v8, v18 src0_sel:BYTE_0 src1_sel:DWORD
	v_lshlrev_b64 v[4:5], v16, -1
	v_addc_co_u32_e32 v14, vcc, 0, v16, vcc
	v_and_b32_e32 v9, s9, v5
	v_lshlrev_b32_e32 v19, 2, v14
	v_or_b32_e32 v9, 0x80000000, v9
	ds_bpermute_b32 v14, v19, v6
	v_and_b32_e32 v13, s8, v4
	v_ffbl_b32_e32 v9, v9
	ds_bpermute_b32 v23, v19, v7
	v_add_u32_e32 v9, 32, v9
	v_ffbl_b32_e32 v13, v13
	v_min_u32_e32 v9, v13, v9
	v_mov_b32_e32 v13, 0
	v_add_u32_e32 v20, 1, v16
	v_mov_b32_e32 v15, v13
	v_mov_b32_e32 v22, v13
	s_waitcnt lgkmcnt(1)
	v_lshl_add_u64 v[14:15], v[6:7], 0, v[14:15]
	v_cmp_le_u32_e32 vcc, v20, v9
	v_cmp_gt_u32_e64 s[8:9], 62, v17
	s_waitcnt lgkmcnt(0)
	v_lshl_add_u64 v[22:23], v[22:23], 0, v[14:15]
	v_cndmask_b32_e32 v26, v6, v14, vcc
	v_cndmask_b32_e64 v14, 0, 1, s[8:9]
	v_lshlrev_b32_e32 v14, 1, v14
	v_cndmask_b32_e32 v15, v7, v23, vcc
	v_add_lshl_u32 v21, v14, v16, 2
	ds_bpermute_b32 v24, v21, v26
	ds_bpermute_b32 v25, v21, v15
	v_cmp_gt_u32_e64 s[10:11], 60, v17
	v_cndmask_b32_e32 v14, v6, v22, vcc
	v_add_u32_e32 v22, 2, v16
	v_cndmask_b32_e64 v23, 0, 1, s[10:11]
	s_waitcnt lgkmcnt(0)
	v_lshl_add_u64 v[24:25], v[24:25], 0, v[14:15]
	v_cmp_le_u32_e64 s[8:9], v22, v9
	v_lshlrev_b32_e32 v23, 2, v23
	v_add_lshl_u32 v23, v23, v16, 2
	v_cndmask_b32_e64 v28, v26, v24, s[8:9]
	v_cndmask_b32_e64 v15, v15, v25, s[8:9]
	ds_bpermute_b32 v26, v23, v28
	ds_bpermute_b32 v27, v23, v15
	v_cmp_gt_u32_e64 s[12:13], 56, v17
	v_cndmask_b32_e64 v14, v14, v24, s[8:9]
	v_add_u32_e32 v24, 4, v16
	v_cndmask_b32_e64 v25, 0, 1, s[12:13]
	s_waitcnt lgkmcnt(0)
	v_lshl_add_u64 v[26:27], v[26:27], 0, v[14:15]
	v_cmp_le_u32_e64 s[10:11], v24, v9
	v_lshlrev_b32_e32 v25, 3, v25
	v_add_lshl_u32 v25, v25, v16, 2
	v_cndmask_b32_e64 v30, v28, v26, s[10:11]
	v_cndmask_b32_e64 v15, v15, v27, s[10:11]
	ds_bpermute_b32 v28, v25, v30
	ds_bpermute_b32 v29, v25, v15
	s_or_b64 s[12:13], vcc, s[8:9]
	v_cmp_gt_u32_e64 s[8:9], 48, v17
	v_cndmask_b32_e64 v14, v14, v26, s[10:11]
	v_add_u32_e32 v26, 8, v16
	v_cndmask_b32_e64 v27, 0, 1, s[8:9]
	s_waitcnt lgkmcnt(0)
	v_lshl_add_u64 v[28:29], v[28:29], 0, v[14:15]
	v_cmp_le_u32_e32 vcc, v26, v9
	v_lshlrev_b32_e32 v27, 4, v27
	v_add_lshl_u32 v27, v27, v16, 2
	v_cndmask_b32_e32 v63, v30, v28, vcc
	v_cndmask_b32_e32 v15, v15, v29, vcc
	ds_bpermute_b32 v30, v27, v63
	ds_bpermute_b32 v31, v27, v15
	s_or_b64 s[8:9], s[10:11], s[12:13]
	v_cndmask_b32_e32 v14, v14, v28, vcc
	v_add_u32_e32 v28, 16, v16
	s_or_b64 s[8:9], vcc, s[8:9]
	v_cmp_le_u32_e32 vcc, v28, v9
	s_or_b64 s[10:11], vcc, s[8:9]
	v_cmp_gt_u32_e64 s[8:9], 32, v17
	s_waitcnt lgkmcnt(0)
	v_lshl_add_u64 v[32:33], v[30:31], 0, v[14:15]
	v_cndmask_b32_e32 v30, v63, v32, vcc
	v_cndmask_b32_e64 v17, 0, 1, s[8:9]
	v_lshlrev_b32_e32 v17, 5, v17
	v_add_lshl_u32 v29, v17, v16, 2
	v_cndmask_b32_e32 v15, v15, v33, vcc
	ds_bpermute_b32 v17, v29, v15
	ds_bpermute_b32 v31, v29, v30
	v_add_u32_e32 v30, 32, v16
	v_cndmask_b32_e32 v14, v14, v32, vcc
	v_cmp_le_u32_e32 vcc, v30, v9
	s_waitcnt lgkmcnt(1)
	s_nop 0
	v_cndmask_b32_e32 v17, 0, v17, vcc
	s_waitcnt lgkmcnt(0)
	v_cndmask_b32_e32 v16, 0, v31, vcc
	v_lshl_add_u64 v[14:15], v[16:17], 0, v[14:15]
	s_or_b64 vcc, vcc, s[10:11]
	v_cndmask_b32_e32 v7, v7, v15, vcc
	v_cndmask_b32_e32 v6, v6, v14, vcc
	s_branch .LBB19_48
.LBB19_47:                              ;   in Loop: Header=BB19_48 Depth=1
	s_or_b64 exec, exec, s[8:9]
	v_cmp_eq_u16_sdwa s[8:9], v8, v18 src0_sel:BYTE_0 src1_sel:DWORD
	v_subrev_u32_e32 v9, 64, v12
	ds_bpermute_b32 v17, v19, v7
	v_and_b32_e32 v12, s9, v5
	v_or_b32_e32 v12, 0x80000000, v12
	v_ffbl_b32_e32 v12, v12
	v_add_u32_e32 v31, 32, v12
	ds_bpermute_b32 v12, v19, v6
	v_and_b32_e32 v16, s8, v4
	v_ffbl_b32_e32 v16, v16
	v_min_u32_e32 v31, v16, v31
	v_mov_b32_e32 v16, v13
	s_waitcnt lgkmcnt(0)
	v_lshl_add_u64 v[32:33], v[6:7], 0, v[12:13]
	v_lshl_add_u64 v[16:17], v[16:17], 0, v[32:33]
	v_cmp_le_u32_e32 vcc, v20, v31
	v_cmp_le_u32_e64 s[8:9], v22, v31
	v_cmp_le_u32_e64 s[10:11], v24, v31
	v_cndmask_b32_e32 v12, v6, v32, vcc
	v_cndmask_b32_e32 v17, v7, v17, vcc
	ds_bpermute_b32 v32, v21, v12
	ds_bpermute_b32 v33, v21, v17
	v_cndmask_b32_e32 v16, v6, v16, vcc
	v_cmp_le_u32_e64 s[12:13], v26, v31
	s_waitcnt lgkmcnt(0)
	v_lshl_add_u64 v[32:33], v[32:33], 0, v[16:17]
	v_cndmask_b32_e64 v12, v12, v32, s[8:9]
	v_cndmask_b32_e64 v17, v17, v33, s[8:9]
	ds_bpermute_b32 v70, v23, v12
	ds_bpermute_b32 v71, v23, v17
	v_cndmask_b32_e64 v16, v16, v32, s[8:9]
	s_or_b64 s[8:9], vcc, s[8:9]
	v_cmp_le_u32_e32 vcc, v28, v31
	s_or_b64 s[8:9], s[10:11], s[8:9]
	s_waitcnt lgkmcnt(0)
	v_lshl_add_u64 v[32:33], v[70:71], 0, v[16:17]
	v_cndmask_b32_e64 v12, v12, v32, s[10:11]
	v_cndmask_b32_e64 v17, v17, v33, s[10:11]
	ds_bpermute_b32 v70, v25, v12
	ds_bpermute_b32 v71, v25, v17
	v_cndmask_b32_e64 v16, v16, v32, s[10:11]
	s_or_b64 s[8:9], s[12:13], s[8:9]
	s_or_b64 s[8:9], vcc, s[8:9]
	s_waitcnt lgkmcnt(0)
	v_lshl_add_u64 v[32:33], v[70:71], 0, v[16:17]
	v_cndmask_b32_e64 v12, v12, v32, s[12:13]
	v_cndmask_b32_e64 v17, v17, v33, s[12:13]
	ds_bpermute_b32 v70, v27, v12
	ds_bpermute_b32 v71, v27, v17
	v_cndmask_b32_e64 v16, v16, v32, s[12:13]
	s_waitcnt lgkmcnt(0)
	v_lshl_add_u64 v[32:33], v[70:71], 0, v[16:17]
	v_cndmask_b32_e32 v12, v12, v32, vcc
	v_cndmask_b32_e32 v17, v17, v33, vcc
	ds_bpermute_b32 v33, v29, v17
	ds_bpermute_b32 v12, v29, v12
	v_cndmask_b32_e32 v16, v16, v32, vcc
	v_cmp_le_u32_e32 vcc, v30, v31
	s_waitcnt lgkmcnt(1)
	s_nop 0
	v_cndmask_b32_e32 v33, 0, v33, vcc
	s_waitcnt lgkmcnt(0)
	v_cndmask_b32_e32 v32, 0, v12, vcc
	v_lshl_add_u64 v[16:17], v[32:33], 0, v[16:17]
	s_or_b64 vcc, vcc, s[8:9]
	v_cndmask_b32_e32 v7, v7, v17, vcc
	v_cndmask_b32_e32 v6, v6, v16, vcc
	v_lshl_add_u64 v[6:7], v[6:7], 0, v[14:15]
	v_mov_b32_e32 v12, v9
.LBB19_48:                              ; =>This Loop Header: Depth=1
                                        ;     Child Loop BB19_51 Depth 2
	v_cmp_ne_u16_sdwa s[8:9], v8, v18 src0_sel:BYTE_0 src1_sel:DWORD
	v_mov_b64_e32 v[14:15], v[6:7]
	s_nop 0
	v_cndmask_b32_e64 v8, 0, 1, s[8:9]
	;;#ASMSTART
	;;#ASMEND
	s_nop 0
	v_cmp_ne_u32_e32 vcc, 0, v8
	s_cmp_lg_u64 vcc, exec
	s_cbranch_scc1 .LBB19_53
; %bb.49:                               ;   in Loop: Header=BB19_48 Depth=1
	v_lshl_add_u64 v[16:17], v[12:13], 4, s[24:25]
	;;#ASMSTART
	global_load_dwordx4 v[6:9], v[16:17] off sc1	
s_waitcnt vmcnt(0)
	;;#ASMEND
	s_nop 0
	v_cmp_eq_u16_sdwa s[10:11], v8, v13 src0_sel:BYTE_0 src1_sel:DWORD
	s_and_saveexec_b64 s[8:9], s[10:11]
	s_cbranch_execz .LBB19_47
; %bb.50:                               ;   in Loop: Header=BB19_48 Depth=1
	s_mov_b64 s[10:11], 0
.LBB19_51:                              ;   Parent Loop BB19_48 Depth=1
                                        ; =>  This Inner Loop Header: Depth=2
	;;#ASMSTART
	global_load_dwordx4 v[6:9], v[16:17] off sc1	
s_waitcnt vmcnt(0)
	;;#ASMEND
	s_nop 0
	v_cmp_ne_u16_sdwa s[12:13], v8, v13 src0_sel:BYTE_0 src1_sel:DWORD
	s_or_b64 s[10:11], s[12:13], s[10:11]
	s_andn2_b64 exec, exec, s[10:11]
	s_cbranch_execnz .LBB19_51
; %bb.52:                               ;   in Loop: Header=BB19_48 Depth=1
	s_or_b64 exec, exec, s[10:11]
	s_branch .LBB19_47
.LBB19_53:                              ;   in Loop: Header=BB19_48 Depth=1
                                        ; implicit-def: $vgpr6_vgpr7
                                        ; implicit-def: $vgpr8
	s_cbranch_execz .LBB19_48
; %bb.54:
	s_and_saveexec_b64 s[8:9], s[4:5]
	s_cbranch_execz .LBB19_56
; %bb.55:
	s_add_i32 s2, s2, 64
	s_mov_b32 s3, 0
	s_lshl_b64 s[2:3], s[2:3], 4
	s_add_u32 s2, s24, s2
	s_addc_u32 s3, s25, s3
	v_lshl_add_u64 v[2:3], v[14:15], 0, v[2:3]
	v_mov_b32_e32 v4, 2
	v_mov_b32_e32 v5, 0
	v_mov_b64_e32 v[6:7], s[2:3]
	;;#ASMSTART
	global_store_dwordx4 v[6:7], v[2:5] off sc1	
s_waitcnt vmcnt(0)
	;;#ASMEND
.LBB19_56:
	s_or_b64 exec, exec, s[8:9]
	s_and_b64 exec, exec, s[6:7]
	s_cbranch_execz .LBB19_58
; %bb.57:
	v_mov_b32_e32 v2, 0
	ds_write_b64 v2, v[14:15]
.LBB19_58:
	s_or_b64 exec, exec, s[26:27]
	v_mov_b32_e32 v2, 0
	s_waitcnt lgkmcnt(0)
	s_barrier
	ds_read_b64 v[2:3], v2
	s_waitcnt lgkmcnt(0)
	v_lshl_add_u64 v[2:3], v[2:3], 0, v[10:11]
	v_lshl_add_u64 v[4:5], v[2:3], 0, v[34:35]
	;; [unrolled: 1-line block ×15, first 2 shown]
	s_load_dwordx4 s[4:7], s[0:1], 0x38
	s_branch .LBB19_69
.LBB19_59:
                                        ; implicit-def: $vgpr2_vgpr3_vgpr4_vgpr5_vgpr6_vgpr7_vgpr8_vgpr9_vgpr10_vgpr11_vgpr12_vgpr13_vgpr14_vgpr15_vgpr16_vgpr17_vgpr18_vgpr19_vgpr20_vgpr21_vgpr22_vgpr23_vgpr24_vgpr25_vgpr26_vgpr27_vgpr28_vgpr29_vgpr30_vgpr31_vgpr32_vgpr33
	s_load_dwordx4 s[4:7], s[0:1], 0x38
	s_cbranch_execz .LBB19_69
; %bb.60:
	s_load_dword s2, s[0:1], 0x48
	s_waitcnt lgkmcnt(0)
	s_bitcmp0_b32 s2, 0
	s_cbranch_scc1 .LBB19_62
; %bb.61:
	s_add_u32 s2, s16, -8
	s_addc_u32 s3, s17, -1
	s_load_dwordx2 s[8:9], s[4:5], 0x0
	s_load_dwordx2 s[10:11], s[2:3], 0x0
	s_waitcnt lgkmcnt(0)
	s_add_u32 s22, s10, s8
	s_addc_u32 s23, s11, s9
.LBB19_62:
	v_lshl_add_u64 v[2:3], v[66:67], 0, v[40:41]
	v_lshl_add_u64 v[2:3], v[2:3], 0, v[42:43]
	;; [unrolled: 1-line block ×12, first 2 shown]
	v_add_lshl_u32 v1, v1, v0, 3
	v_cmp_gt_u32_e32 vcc, 64, v0
	ds_write_b64 v1, v[2:3]
	s_waitcnt lgkmcnt(0)
	s_barrier
	s_and_saveexec_b64 s[2:3], vcc
	s_cbranch_execz .LBB19_64
; %bb.63:
	v_lshlrev_b32_e32 v1, 2, v0
	v_lshrrev_b32_e32 v4, 3, v0
	v_add_lshl_u32 v1, v4, v1, 3
	ds_read2_b64 v[4:7], v1 offset1:1
	ds_read2_b64 v[8:11], v1 offset0:2 offset1:3
	v_mbcnt_lo_u32_b32 v13, -1, 0
	v_mov_b32_e32 v12, 0
	v_mbcnt_hi_u32_b32 v20, -1, v13
	s_waitcnt lgkmcnt(1)
	v_lshl_add_u64 v[14:15], v[6:7], 0, v[4:5]
	s_waitcnt lgkmcnt(0)
	v_lshl_add_u64 v[14:15], v[14:15], 0, v[8:9]
	v_lshl_add_u64 v[14:15], v[14:15], 0, v[10:11]
	v_and_b32_e32 v21, 15, v20
	v_mov_b32_e32 v17, v12
	v_mov_b32_dpp v16, v14 row_shr:1 row_mask:0xf bank_mask:0xf
	v_mov_b32_dpp v13, v15 row_shr:1 row_mask:0xf bank_mask:0xf
	v_lshl_add_u64 v[16:17], v[14:15], 0, v[16:17]
	v_cmp_eq_u32_e32 vcc, 0, v21
	v_lshl_add_u64 v[18:19], v[12:13], 0, v[16:17]
	v_mov_b32_e32 v17, v12
	v_cndmask_b32_e32 v22, v16, v14, vcc
	v_cndmask_b32_e32 v15, v19, v15, vcc
	v_cndmask_b32_e32 v14, v18, v14, vcc
	v_mov_b32_dpp v16, v22 row_shr:2 row_mask:0xf bank_mask:0xf
	v_mov_b32_dpp v13, v15 row_shr:2 row_mask:0xf bank_mask:0xf
	v_lshl_add_u64 v[16:17], v[14:15], 0, v[16:17]
	v_cmp_lt_u32_e32 vcc, 1, v21
	v_lshl_add_u64 v[18:19], v[16:17], 0, v[12:13]
	v_mov_b32_e32 v17, v12
	v_cndmask_b32_e32 v22, v22, v16, vcc
	v_cndmask_b32_e32 v15, v15, v19, vcc
	v_cndmask_b32_e32 v14, v14, v18, vcc
	v_mov_b32_dpp v16, v22 row_shr:4 row_mask:0xf bank_mask:0xf
	v_mov_b32_dpp v13, v15 row_shr:4 row_mask:0xf bank_mask:0xf
	v_lshl_add_u64 v[16:17], v[14:15], 0, v[16:17]
	v_cmp_lt_u32_e32 vcc, 3, v21
	;; [unrolled: 9-line block ×3, first 2 shown]
	v_lshl_add_u64 v[18:19], v[16:17], 0, v[12:13]
	v_mov_b32_e32 v17, v12
	v_cndmask_b32_e32 v21, v22, v16, vcc
	v_cndmask_b32_e32 v15, v15, v19, vcc
	;; [unrolled: 1-line block ×3, first 2 shown]
	v_mov_b32_dpp v16, v21 row_bcast:15 row_mask:0xf bank_mask:0xf
	v_and_b32_e32 v22, 16, v20
	v_mov_b32_dpp v13, v15 row_bcast:15 row_mask:0xf bank_mask:0xf
	v_lshl_add_u64 v[16:17], v[14:15], 0, v[16:17]
	v_cmp_eq_u32_e32 vcc, 0, v22
	v_lshl_add_u64 v[18:19], v[16:17], 0, v[12:13]
	v_mov_b32_e32 v17, v12
	v_cndmask_b32_e32 v13, v16, v21, vcc
	v_cndmask_b32_e32 v15, v19, v15, vcc
	;; [unrolled: 1-line block ×3, first 2 shown]
	v_mov_b32_dpp v16, v13 row_bcast:31 row_mask:0xf bank_mask:0xf
	v_mov_b32_dpp v18, v15 row_bcast:31 row_mask:0xf bank_mask:0xf
	v_lshl_add_u64 v[16:17], v[14:15], 0, v[16:17]
	v_add_u32_e32 v14, v18, v17
	v_cmp_lt_u32_e32 vcc, 31, v20
	s_nop 1
	v_cndmask_b32_e32 v13, v13, v16, vcc
	v_cndmask_b32_e32 v15, v15, v14, vcc
	v_add_u32_e32 v14, -1, v20
	v_and_b32_e32 v16, 64, v20
	v_cmp_lt_i32_e32 vcc, v14, v16
	s_nop 1
	v_cndmask_b32_e32 v14, v14, v20, vcc
	v_lshlrev_b32_e32 v16, 2, v14
	ds_bpermute_b32 v14, v16, v13
	ds_bpermute_b32 v13, v16, v15
	v_mov_b32_e32 v15, v12
	v_cmp_eq_u32_e32 vcc, 0, v0
	s_waitcnt lgkmcnt(1)
	v_lshl_add_u64 v[4:5], v[4:5], 0, v[14:15]
	s_waitcnt lgkmcnt(0)
	v_lshl_add_u64 v[4:5], v[4:5], 0, v[12:13]
	v_cndmask_b32_e32 v3, v5, v3, vcc
	v_cndmask_b32_e32 v2, v4, v2, vcc
	v_lshl_add_u64 v[4:5], v[2:3], 0, v[6:7]
	ds_write2_b64 v1, v[2:3], v[4:5] offset1:1
	v_lshl_add_u64 v[2:3], v[4:5], 0, v[8:9]
	v_lshl_add_u64 v[4:5], v[2:3], 0, v[10:11]
	ds_write2_b64 v1, v[2:3], v[4:5] offset0:2 offset1:3
.LBB19_64:
	s_or_b64 exec, exec, s[2:3]
	v_cmp_eq_u32_e32 vcc, 0, v0
	v_cmp_ne_u32_e64 s[2:3], 0, v0
	v_mov_b64_e32 v[2:3], s[22:23]
	s_waitcnt lgkmcnt(0)
	s_barrier
	s_and_saveexec_b64 s[4:5], s[2:3]
	s_cbranch_execz .LBB19_66
; %bb.65:
	v_add_u32_e32 v1, -1, v0
	v_lshrrev_b32_e32 v2, 5, v1
	v_add_lshl_u32 v1, v2, v1, 3
	ds_read_b64 v[2:3], v1
	s_waitcnt lgkmcnt(0)
	v_lshl_add_u64 v[2:3], v[2:3], 0, s[22:23]
.LBB19_66:
	s_or_b64 exec, exec, s[4:5]
	v_lshl_add_u64 v[4:5], v[2:3], 0, v[34:35]
	v_lshl_add_u64 v[6:7], v[4:5], 0, v[36:37]
	;; [unrolled: 1-line block ×14, first 2 shown]
	s_and_saveexec_b64 s[2:3], vcc
	s_cbranch_execz .LBB19_68
; %bb.67:
	v_mov_b32_e32 v35, 0
	ds_read_b64 v[32:33], v35 offset:2096
	s_add_u32 s4, s24, 0x400
	s_addc_u32 s5, s25, 0
	v_mov_b32_e32 v34, 2
	v_mov_b64_e32 v[36:37], s[4:5]
	s_waitcnt lgkmcnt(0)
	v_lshl_add_u64 v[32:33], v[32:33], 0, s[22:23]
	;;#ASMSTART
	global_store_dwordx4 v[36:37], v[32:35] off sc1	
s_waitcnt vmcnt(0)
	;;#ASMEND
.LBB19_68:
	s_or_b64 exec, exec, s[2:3]
.LBB19_69:
	s_add_u32 s2, s18, s20
	s_addc_u32 s3, s19, s21
	s_waitcnt lgkmcnt(0)
	s_mov_b64 s[4:5], -1
	s_and_b64 vcc, exec, s[14:15]
	s_barrier
	s_cbranch_vccz .LBB19_71
; %bb.70:
	v_mul_u32_u24_e32 v1, 0x78, v0
	s_movk_i32 s4, 0x78
	ds_write2_b64 v1, v[2:3], v[4:5] offset1:1
	ds_write2_b64 v1, v[6:7], v[8:9] offset0:2 offset1:3
	ds_write2_b64 v1, v[10:11], v[12:13] offset0:4 offset1:5
	;; [unrolled: 1-line block ×6, first 2 shown]
	ds_write_b64 v1, v[30:31] offset:112
	v_mul_i32_i24_e32 v1, 0xffffff90, v0
	v_mad_u32_u24 v1, v0, s4, v1
	v_mov_b32_e32 v63, 0
	s_waitcnt lgkmcnt(0)
	s_barrier
	ds_read2st64_b64 v[32:35], v1 offset1:4
	ds_read2st64_b64 v[36:39], v1 offset0:8 offset1:12
	ds_read2st64_b64 v[40:43], v1 offset0:16 offset1:20
	;; [unrolled: 1-line block ×6, first 2 shown]
	ds_read_b64 v[60:61], v1 offset:28672
	v_lshl_add_u64 v[64:65], s[2:3], 0, v[62:63]
	s_movk_i32 s4, 0x1000
	s_waitcnt lgkmcnt(7)
	global_store_dwordx2 v62, v[32:33], s[2:3]
	global_store_dwordx2 v62, v[34:35], s[2:3] offset:2048
	v_add_co_u32_e32 v32, vcc, s4, v64
	s_movk_i32 s4, 0x2000
	s_nop 0
	v_addc_co_u32_e32 v33, vcc, 0, v65, vcc
	v_add_co_u32_e32 v34, vcc, s4, v64
	s_movk_i32 s4, 0x3000
	s_nop 0
	v_addc_co_u32_e32 v35, vcc, 0, v65, vcc
	s_waitcnt lgkmcnt(6)
	global_store_dwordx2 v[34:35], v[36:37], off offset:-4096
	global_store_dwordx2 v[32:33], v[38:39], off offset:2048
	s_waitcnt lgkmcnt(5)
	global_store_dwordx2 v[34:35], v[40:41], off
	global_store_dwordx2 v[34:35], v[42:43], off offset:2048
	v_add_co_u32_e32 v32, vcc, s4, v64
	s_movk_i32 s4, 0x4000
	s_nop 0
	v_addc_co_u32_e32 v33, vcc, 0, v65, vcc
	v_add_co_u32_e32 v34, vcc, s4, v64
	s_movk_i32 s4, 0x5000
	s_nop 0
	v_addc_co_u32_e32 v35, vcc, 0, v65, vcc
	s_waitcnt lgkmcnt(4)
	global_store_dwordx2 v[34:35], v[44:45], off offset:-4096
	global_store_dwordx2 v[32:33], v[46:47], off offset:2048
	s_waitcnt lgkmcnt(3)
	global_store_dwordx2 v[34:35], v[48:49], off
	global_store_dwordx2 v[34:35], v[50:51], off offset:2048
	v_add_co_u32_e32 v32, vcc, s4, v64
	s_mov_b64 s[4:5], 0
	s_nop 0
	v_addc_co_u32_e32 v33, vcc, 0, v65, vcc
	s_waitcnt lgkmcnt(2)
	global_store_dwordx2 v[32:33], v[52:53], off
	global_store_dwordx2 v[32:33], v[54:55], off offset:2048
	v_add_co_u32_e32 v32, vcc, 0x6000, v64
	s_nop 1
	v_addc_co_u32_e32 v33, vcc, 0, v65, vcc
	s_waitcnt lgkmcnt(1)
	global_store_dwordx2 v[32:33], v[56:57], off
	global_store_dwordx2 v[32:33], v[58:59], off offset:2048
	v_add_co_u32_e32 v32, vcc, 0x7000, v64
	s_nop 1
	v_addc_co_u32_e32 v33, vcc, 0, v65, vcc
	s_waitcnt lgkmcnt(0)
	global_store_dwordx2 v[32:33], v[60:61], off
.LBB19_71:
	s_andn2_b64 vcc, exec, s[4:5]
	s_cbranch_vccnz .LBB19_157
; %bb.72:
	v_mul_u32_u24_e32 v1, 0x78, v0
	s_movk_i32 s4, 0x78
	ds_write2_b64 v1, v[2:3], v[4:5] offset1:1
	ds_write2_b64 v1, v[6:7], v[8:9] offset0:2 offset1:3
	ds_write2_b64 v1, v[10:11], v[12:13] offset0:4 offset1:5
	;; [unrolled: 1-line block ×6, first 2 shown]
	ds_write_b64 v1, v[30:31] offset:112
	v_mul_i32_i24_e32 v1, 0xffffff90, v0
	v_mad_u32_u24 v1, v0, s4, v1
	s_waitcnt lgkmcnt(0)
	s_barrier
	ds_read2st64_b64 v[6:9], v1 offset1:4
	ds_read2st64_b64 v[14:17], v1 offset0:8 offset1:12
	ds_read2st64_b64 v[10:13], v1 offset0:16 offset1:20
	ds_read2st64_b64 v[26:29], v1 offset0:24 offset1:28
	ds_read2st64_b64 v[18:21], v1 offset0:32 offset1:36
	ds_read2st64_b64 v[2:5], v1 offset0:40 offset1:44
	ds_read2st64_b64 v[22:25], v1 offset0:48 offset1:52
	ds_read_b64 v[30:31], v1 offset:28672
	v_mov_b32_e32 v63, 0
	v_lshl_add_u64 v[32:33], s[2:3], 0, v[62:63]
	v_cmp_gt_u32_e32 vcc, s28, v0
	s_and_saveexec_b64 s[2:3], vcc
	s_cbranch_execz .LBB19_74
; %bb.73:
	s_waitcnt lgkmcnt(7)
	global_store_dwordx2 v[32:33], v[6:7], off
.LBB19_74:
	s_or_b64 exec, exec, s[2:3]
	v_or_b32_e32 v1, 0x100, v0
	v_cmp_gt_u32_e32 vcc, s28, v1
	s_and_saveexec_b64 s[2:3], vcc
	s_cbranch_execz .LBB19_76
; %bb.75:
	s_waitcnt lgkmcnt(7)
	global_store_dwordx2 v[32:33], v[8:9], off offset:2048
.LBB19_76:
	s_or_b64 exec, exec, s[2:3]
	v_or_b32_e32 v1, 0x200, v0
	v_cmp_gt_u32_e32 vcc, s28, v1
	s_and_saveexec_b64 s[2:3], vcc
	s_cbranch_execz .LBB19_78
; %bb.77:
	v_add_co_u32_e32 v34, vcc, 0x1000, v32
	s_nop 1
	v_addc_co_u32_e32 v35, vcc, 0, v33, vcc
	s_waitcnt lgkmcnt(6)
	global_store_dwordx2 v[34:35], v[14:15], off
.LBB19_78:
	s_or_b64 exec, exec, s[2:3]
	v_or_b32_e32 v1, 0x300, v0
	v_cmp_gt_u32_e32 vcc, s28, v1
	s_and_saveexec_b64 s[2:3], vcc
	s_cbranch_execz .LBB19_80
; %bb.79:
	v_add_co_u32_e32 v34, vcc, 0x1000, v32
	s_nop 1
	v_addc_co_u32_e32 v35, vcc, 0, v33, vcc
	s_waitcnt lgkmcnt(6)
	global_store_dwordx2 v[34:35], v[16:17], off offset:2048
.LBB19_80:
	s_or_b64 exec, exec, s[2:3]
	v_or_b32_e32 v1, 0x400, v0
	v_cmp_gt_u32_e32 vcc, s28, v1
	s_and_saveexec_b64 s[2:3], vcc
	s_cbranch_execz .LBB19_82
; %bb.81:
	v_add_co_u32_e32 v34, vcc, 0x2000, v32
	s_nop 1
	v_addc_co_u32_e32 v35, vcc, 0, v33, vcc
	s_waitcnt lgkmcnt(5)
	global_store_dwordx2 v[34:35], v[10:11], off
.LBB19_82:
	s_or_b64 exec, exec, s[2:3]
	v_or_b32_e32 v1, 0x500, v0
	v_cmp_gt_u32_e32 vcc, s28, v1
	s_and_saveexec_b64 s[2:3], vcc
	s_cbranch_execz .LBB19_84
; %bb.83:
	v_add_co_u32_e32 v34, vcc, 0x2000, v32
	s_nop 1
	v_addc_co_u32_e32 v35, vcc, 0, v33, vcc
	s_waitcnt lgkmcnt(5)
	global_store_dwordx2 v[34:35], v[12:13], off offset:2048
.LBB19_84:
	;; [unrolled: 24-line block ×6, first 2 shown]
	s_or_b64 exec, exec, s[2:3]
	v_or_b32_e32 v1, 0xe00, v0
	v_cmp_gt_u32_e32 vcc, s28, v1
	s_and_saveexec_b64 s[2:3], vcc
	s_cbranch_execz .LBB19_102
; %bb.101:
	v_add_co_u32_e32 v32, vcc, 0x7000, v32
	s_nop 1
	v_addc_co_u32_e32 v33, vcc, 0, v33, vcc
	s_waitcnt lgkmcnt(0)
	global_store_dwordx2 v[32:33], v[30:31], off
.LBB19_102:
	s_or_b64 exec, exec, s[2:3]
	s_load_dword s0, s[0:1], 0x48
	s_waitcnt lgkmcnt(0)
	s_bfe_u32 s0, s0, 0x10008
	s_cmp_eq_u32 s0, 0
	s_cbranch_scc1 .LBB19_157
; %bb.103:
	s_add_u32 s0, s28, -1
	s_addc_u32 s1, s29, -1
	s_add_u32 s2, 0, 0x11108400
	s_addc_u32 s3, 0, 49
	s_add_i32 s3, s3, 0x111110e0
	s_mul_hi_u32 s9, s2, -15
	s_sub_i32 s9, s9, s2
	s_mul_i32 s10, s3, -15
	s_mul_i32 s4, s2, -15
	s_add_i32 s9, s9, s10
	s_mul_hi_u32 s5, s3, s4
	s_mul_i32 s8, s3, s4
	s_mul_i32 s11, s2, s9
	s_mul_hi_u32 s4, s2, s4
	s_mul_hi_u32 s10, s2, s9
	s_add_u32 s4, s4, s11
	s_addc_u32 s10, 0, s10
	s_add_u32 s4, s4, s8
	s_mul_hi_u32 s11, s3, s9
	s_addc_u32 s4, s10, s5
	s_addc_u32 s5, s11, 0
	s_mul_i32 s8, s3, s9
	s_add_u32 s4, s4, s8
	v_mov_b32_e32 v32, s4
	s_addc_u32 s5, 0, s5
	v_add_co_u32_e32 v32, vcc, s2, v32
	s_cmp_lg_u64 vcc, 0
	s_addc_u32 s2, s3, s5
	v_readfirstlane_b32 s5, v32
	s_mul_i32 s4, s0, s2
	s_mul_hi_u32 s8, s0, s5
	s_mul_hi_u32 s3, s0, s2
	s_add_u32 s4, s8, s4
	s_addc_u32 s3, 0, s3
	s_mul_hi_u32 s9, s1, s5
	s_mul_i32 s5, s1, s5
	s_add_u32 s4, s4, s5
	s_mul_hi_u32 s8, s1, s2
	s_addc_u32 s3, s3, s9
	s_addc_u32 s4, s8, 0
	s_mul_i32 s2, s1, s2
	s_add_u32 s2, s3, s2
	s_addc_u32 s3, 0, s4
	s_add_u32 s4, s2, 1
	s_addc_u32 s5, s3, 0
	s_add_u32 s8, s2, 2
	s_mul_i32 s10, s3, 15
	s_mul_hi_u32 s11, s2, 15
	s_addc_u32 s9, s3, 0
	s_add_i32 s11, s11, s10
	s_mul_i32 s10, s2, 15
	v_mov_b32_e32 v32, s10
	v_sub_co_u32_e32 v32, vcc, s0, v32
	s_cmp_lg_u64 vcc, 0
	s_subb_u32 s10, s1, s11
	v_subrev_co_u32_e32 v33, vcc, 15, v32
	s_cmp_lg_u64 vcc, 0
	s_subb_u32 s11, s10, 0
	v_readfirstlane_b32 s12, v33
	s_cmp_gt_u32 s12, 14
	s_cselect_b32 s12, -1, 0
	s_cmp_eq_u32 s11, 0
	s_cselect_b32 s11, s12, -1
	s_cmp_lg_u32 s11, 0
	s_cselect_b32 s4, s8, s4
	v_readfirstlane_b32 s8, v32
	s_cselect_b32 s5, s9, s5
	s_cmp_gt_u32 s8, 14
	s_cselect_b32 s8, -1, 0
	s_cmp_eq_u32 s10, 0
	s_cselect_b32 s8, s8, -1
	s_cmp_lg_u32 s8, 0
	v_mov_b32_e32 v1, v63
	s_cselect_b32 s3, s5, s3
	s_cselect_b32 s2, s4, s2
	v_cmp_eq_u64_e32 vcc, s[2:3], v[0:1]
	s_and_saveexec_b64 s[2:3], vcc
	s_cbranch_execz .LBB19_157
; %bb.104:
	v_mul_hi_u32_u24_e32 v1, 15, v0
	v_mov_b32_e32 v32, s1
	v_sub_co_u32_e32 v0, vcc, s0, v68
	s_nop 1
	v_subb_co_u32_e32 v1, vcc, v32, v1, vcc
	v_cmp_lt_i64_e32 vcc, 7, v[0:1]
	s_and_saveexec_b64 s[0:1], vcc
	s_xor_b64 s[0:1], exec, s[0:1]
	s_cbranch_execz .LBB19_130
; %bb.105:
	v_cmp_lt_i64_e32 vcc, 10, v[0:1]
	s_and_saveexec_b64 s[2:3], vcc
	s_xor_b64 s[2:3], exec, s[2:3]
	s_cbranch_execz .LBB19_119
; %bb.106:
	;; [unrolled: 5-line block ×4, first 2 shown]
	v_mov_b32_e32 v0, 0
	global_store_dwordx2 v0, v[30:31], s[6:7]
                                        ; implicit-def: $vgpr22_vgpr23_vgpr24_vgpr25
.LBB19_109:
	s_andn2_saveexec_b64 s[8:9], s[8:9]
	s_cbranch_execz .LBB19_111
; %bb.110:
	v_mov_b32_e32 v0, 0
	global_store_dwordx2 v0, v[24:25], s[6:7]
.LBB19_111:
	s_or_b64 exec, exec, s[8:9]
                                        ; implicit-def: $vgpr2_vgpr3_vgpr4_vgpr5
                                        ; implicit-def: $vgpr0_vgpr1
                                        ; implicit-def: $vgpr22_vgpr23_vgpr24_vgpr25
.LBB19_112:
	s_andn2_saveexec_b64 s[4:5], s[4:5]
	s_cbranch_execz .LBB19_118
; %bb.113:
	v_cmp_lt_i64_e32 vcc, 11, v[0:1]
	s_and_saveexec_b64 s[8:9], vcc
	s_xor_b64 s[8:9], exec, s[8:9]
	s_cbranch_execz .LBB19_115
; %bb.114:
	v_mov_b32_e32 v0, 0
	global_store_dwordx2 v0, v[22:23], s[6:7]
                                        ; implicit-def: $vgpr2_vgpr3_vgpr4_vgpr5
.LBB19_115:
	s_andn2_saveexec_b64 s[8:9], s[8:9]
	s_cbranch_execz .LBB19_117
; %bb.116:
	v_mov_b32_e32 v0, 0
	global_store_dwordx2 v0, v[4:5], s[6:7]
.LBB19_117:
	s_or_b64 exec, exec, s[8:9]
.LBB19_118:
	s_or_b64 exec, exec, s[4:5]
                                        ; implicit-def: $vgpr18_vgpr19_vgpr20_vgpr21
                                        ; implicit-def: $vgpr0_vgpr1
                                        ; implicit-def: $vgpr2_vgpr3_vgpr4_vgpr5
.LBB19_119:
	s_andn2_saveexec_b64 s[2:3], s[2:3]
	s_cbranch_execz .LBB19_129
; %bb.120:
	v_cmp_lt_i64_e32 vcc, 8, v[0:1]
	s_and_saveexec_b64 s[4:5], vcc
	s_xor_b64 s[4:5], exec, s[4:5]
	s_cbranch_execz .LBB19_126
; %bb.121:
	v_cmp_lt_i64_e32 vcc, 9, v[0:1]
	s_and_saveexec_b64 s[8:9], vcc
	s_xor_b64 s[8:9], exec, s[8:9]
	s_cbranch_execz .LBB19_123
; %bb.122:
	v_mov_b32_e32 v0, 0
	global_store_dwordx2 v0, v[2:3], s[6:7]
                                        ; implicit-def: $vgpr18_vgpr19_vgpr20_vgpr21
.LBB19_123:
	s_andn2_saveexec_b64 s[8:9], s[8:9]
	s_cbranch_execz .LBB19_125
; %bb.124:
	v_mov_b32_e32 v0, 0
	global_store_dwordx2 v0, v[20:21], s[6:7]
.LBB19_125:
	s_or_b64 exec, exec, s[8:9]
                                        ; implicit-def: $vgpr18_vgpr19_vgpr20_vgpr21
.LBB19_126:
	s_andn2_saveexec_b64 s[4:5], s[4:5]
	s_cbranch_execz .LBB19_128
; %bb.127:
	v_mov_b32_e32 v0, 0
	global_store_dwordx2 v0, v[18:19], s[6:7]
.LBB19_128:
	s_or_b64 exec, exec, s[4:5]
.LBB19_129:
	s_or_b64 exec, exec, s[2:3]
                                        ; implicit-def: $vgpr0_vgpr1
                                        ; implicit-def: $vgpr6_vgpr7_vgpr8_vgpr9
                                        ; implicit-def: $vgpr10_vgpr11_vgpr12_vgpr13
                                        ; implicit-def: $vgpr14_vgpr15_vgpr16_vgpr17
                                        ; implicit-def: $vgpr26_vgpr27_vgpr28_vgpr29
.LBB19_130:
	s_andn2_saveexec_b64 s[0:1], s[0:1]
	s_cbranch_execz .LBB19_157
; %bb.131:
	v_cmp_lt_i64_e32 vcc, 3, v[0:1]
	s_and_saveexec_b64 s[0:1], vcc
	s_xor_b64 s[0:1], exec, s[0:1]
	s_cbranch_execz .LBB19_145
; %bb.132:
	v_cmp_lt_i64_e32 vcc, 5, v[0:1]
	s_and_saveexec_b64 s[2:3], vcc
	s_xor_b64 s[2:3], exec, s[2:3]
	;; [unrolled: 5-line block ×3, first 2 shown]
	s_cbranch_execz .LBB19_135
; %bb.134:
	v_mov_b32_e32 v0, 0
	global_store_dwordx2 v0, v[28:29], s[6:7]
                                        ; implicit-def: $vgpr26_vgpr27_vgpr28_vgpr29
.LBB19_135:
	s_andn2_saveexec_b64 s[4:5], s[4:5]
	s_cbranch_execz .LBB19_137
; %bb.136:
	v_mov_b32_e32 v0, 0
	global_store_dwordx2 v0, v[26:27], s[6:7]
.LBB19_137:
	s_or_b64 exec, exec, s[4:5]
                                        ; implicit-def: $vgpr10_vgpr11_vgpr12_vgpr13
                                        ; implicit-def: $vgpr0_vgpr1
.LBB19_138:
	s_andn2_saveexec_b64 s[2:3], s[2:3]
	s_cbranch_execz .LBB19_144
; %bb.139:
	v_cmp_lt_i64_e32 vcc, 4, v[0:1]
	s_and_saveexec_b64 s[4:5], vcc
	s_xor_b64 s[4:5], exec, s[4:5]
	s_cbranch_execz .LBB19_141
; %bb.140:
	v_mov_b32_e32 v0, 0
	global_store_dwordx2 v0, v[12:13], s[6:7]
                                        ; implicit-def: $vgpr10_vgpr11_vgpr12_vgpr13
.LBB19_141:
	s_andn2_saveexec_b64 s[4:5], s[4:5]
	s_cbranch_execz .LBB19_143
; %bb.142:
	v_mov_b32_e32 v0, 0
	global_store_dwordx2 v0, v[10:11], s[6:7]
.LBB19_143:
	s_or_b64 exec, exec, s[4:5]
.LBB19_144:
	s_or_b64 exec, exec, s[2:3]
                                        ; implicit-def: $vgpr0_vgpr1
                                        ; implicit-def: $vgpr6_vgpr7_vgpr8_vgpr9
                                        ; implicit-def: $vgpr14_vgpr15_vgpr16_vgpr17
.LBB19_145:
	s_andn2_saveexec_b64 s[0:1], s[0:1]
	s_cbranch_execz .LBB19_157
; %bb.146:
	v_cmp_lt_i64_e32 vcc, 1, v[0:1]
	s_and_saveexec_b64 s[0:1], vcc
	s_xor_b64 s[0:1], exec, s[0:1]
	s_cbranch_execz .LBB19_152
; %bb.147:
	v_cmp_lt_i64_e32 vcc, 2, v[0:1]
	s_and_saveexec_b64 s[2:3], vcc
	s_xor_b64 s[2:3], exec, s[2:3]
	s_cbranch_execz .LBB19_149
; %bb.148:
	v_mov_b32_e32 v0, 0
	global_store_dwordx2 v0, v[16:17], s[6:7]
                                        ; implicit-def: $vgpr14_vgpr15_vgpr16_vgpr17
.LBB19_149:
	s_andn2_saveexec_b64 s[2:3], s[2:3]
	s_cbranch_execz .LBB19_151
; %bb.150:
	v_mov_b32_e32 v0, 0
	global_store_dwordx2 v0, v[14:15], s[6:7]
.LBB19_151:
	s_or_b64 exec, exec, s[2:3]
                                        ; implicit-def: $vgpr6_vgpr7_vgpr8_vgpr9
                                        ; implicit-def: $vgpr0_vgpr1
.LBB19_152:
	s_andn2_saveexec_b64 s[0:1], s[0:1]
	s_cbranch_execz .LBB19_157
; %bb.153:
	v_cmp_ne_u64_e32 vcc, 1, v[0:1]
	s_and_saveexec_b64 s[0:1], vcc
	s_xor_b64 s[0:1], exec, s[0:1]
	s_cbranch_execz .LBB19_155
; %bb.154:
	v_mov_b32_e32 v0, 0
	global_store_dwordx2 v0, v[6:7], s[6:7]
                                        ; implicit-def: $vgpr6_vgpr7_vgpr8_vgpr9
.LBB19_155:
	s_andn2_saveexec_b64 s[0:1], s[0:1]
	s_cbranch_execz .LBB19_157
; %bb.156:
	v_mov_b32_e32 v0, 0
	global_store_dwordx2 v0, v[8:9], s[6:7]
.LBB19_157:
	s_endpgm
	.section	.rodata,"a",@progbits
	.p2align	6, 0x0
	.amdhsa_kernel _ZN7rocprim17ROCPRIM_304000_NS6detail20lookback_scan_kernelILNS1_25lookback_scan_determinismE0ELb1ENS1_19wrapped_scan_configINS0_14default_configElEEPKlPlN2at4cuda3cub12_GLOBAL__N_15SumOpIlEEllNS1_19lookback_scan_stateIlLb0ELb1EEEEEvT2_T3_mT5_T4_T7_jPT6_SO_bb
		.amdhsa_group_segment_fixed_size 30720
		.amdhsa_private_segment_fixed_size 0
		.amdhsa_kernarg_size 76
		.amdhsa_user_sgpr_count 2
		.amdhsa_user_sgpr_dispatch_ptr 0
		.amdhsa_user_sgpr_queue_ptr 0
		.amdhsa_user_sgpr_kernarg_segment_ptr 1
		.amdhsa_user_sgpr_dispatch_id 0
		.amdhsa_user_sgpr_kernarg_preload_length 0
		.amdhsa_user_sgpr_kernarg_preload_offset 0
		.amdhsa_user_sgpr_private_segment_size 0
		.amdhsa_uses_dynamic_stack 0
		.amdhsa_enable_private_segment 0
		.amdhsa_system_sgpr_workgroup_id_x 1
		.amdhsa_system_sgpr_workgroup_id_y 0
		.amdhsa_system_sgpr_workgroup_id_z 0
		.amdhsa_system_sgpr_workgroup_info 0
		.amdhsa_system_vgpr_workitem_id 0
		.amdhsa_next_free_vgpr 72
		.amdhsa_next_free_sgpr 68
		.amdhsa_accum_offset 72
		.amdhsa_reserve_vcc 1
		.amdhsa_float_round_mode_32 0
		.amdhsa_float_round_mode_16_64 0
		.amdhsa_float_denorm_mode_32 3
		.amdhsa_float_denorm_mode_16_64 3
		.amdhsa_dx10_clamp 1
		.amdhsa_ieee_mode 1
		.amdhsa_fp16_overflow 0
		.amdhsa_tg_split 0
		.amdhsa_exception_fp_ieee_invalid_op 0
		.amdhsa_exception_fp_denorm_src 0
		.amdhsa_exception_fp_ieee_div_zero 0
		.amdhsa_exception_fp_ieee_overflow 0
		.amdhsa_exception_fp_ieee_underflow 0
		.amdhsa_exception_fp_ieee_inexact 0
		.amdhsa_exception_int_div_zero 0
	.end_amdhsa_kernel
	.section	.text._ZN7rocprim17ROCPRIM_304000_NS6detail20lookback_scan_kernelILNS1_25lookback_scan_determinismE0ELb1ENS1_19wrapped_scan_configINS0_14default_configElEEPKlPlN2at4cuda3cub12_GLOBAL__N_15SumOpIlEEllNS1_19lookback_scan_stateIlLb0ELb1EEEEEvT2_T3_mT5_T4_T7_jPT6_SO_bb,"axG",@progbits,_ZN7rocprim17ROCPRIM_304000_NS6detail20lookback_scan_kernelILNS1_25lookback_scan_determinismE0ELb1ENS1_19wrapped_scan_configINS0_14default_configElEEPKlPlN2at4cuda3cub12_GLOBAL__N_15SumOpIlEEllNS1_19lookback_scan_stateIlLb0ELb1EEEEEvT2_T3_mT5_T4_T7_jPT6_SO_bb,comdat
.Lfunc_end19:
	.size	_ZN7rocprim17ROCPRIM_304000_NS6detail20lookback_scan_kernelILNS1_25lookback_scan_determinismE0ELb1ENS1_19wrapped_scan_configINS0_14default_configElEEPKlPlN2at4cuda3cub12_GLOBAL__N_15SumOpIlEEllNS1_19lookback_scan_stateIlLb0ELb1EEEEEvT2_T3_mT5_T4_T7_jPT6_SO_bb, .Lfunc_end19-_ZN7rocprim17ROCPRIM_304000_NS6detail20lookback_scan_kernelILNS1_25lookback_scan_determinismE0ELb1ENS1_19wrapped_scan_configINS0_14default_configElEEPKlPlN2at4cuda3cub12_GLOBAL__N_15SumOpIlEEllNS1_19lookback_scan_stateIlLb0ELb1EEEEEvT2_T3_mT5_T4_T7_jPT6_SO_bb
                                        ; -- End function
	.section	.AMDGPU.csdata,"",@progbits
; Kernel info:
; codeLenInByte = 7388
; NumSgprs: 74
; NumVgprs: 72
; NumAgprs: 0
; TotalNumVgprs: 72
; ScratchSize: 0
; MemoryBound: 1
; FloatMode: 240
; IeeeMode: 1
; LDSByteSize: 30720 bytes/workgroup (compile time only)
; SGPRBlocks: 9
; VGPRBlocks: 8
; NumSGPRsForWavesPerEU: 74
; NumVGPRsForWavesPerEU: 72
; AccumOffset: 72
; Occupancy: 2
; WaveLimiterHint : 1
; COMPUTE_PGM_RSRC2:SCRATCH_EN: 0
; COMPUTE_PGM_RSRC2:USER_SGPR: 2
; COMPUTE_PGM_RSRC2:TRAP_HANDLER: 0
; COMPUTE_PGM_RSRC2:TGID_X_EN: 1
; COMPUTE_PGM_RSRC2:TGID_Y_EN: 0
; COMPUTE_PGM_RSRC2:TGID_Z_EN: 0
; COMPUTE_PGM_RSRC2:TIDIG_COMP_CNT: 0
; COMPUTE_PGM_RSRC3_GFX90A:ACCUM_OFFSET: 17
; COMPUTE_PGM_RSRC3_GFX90A:TG_SPLIT: 0
	.section	.text._ZN7rocprim17ROCPRIM_304000_NS6detail18single_scan_kernelILb1ENS1_19wrapped_scan_configINS0_14default_configElEEPKlPlN2at4cuda3cub12_GLOBAL__N_15SumOpIlEEllEEvT1_mT4_T2_T3_,"axG",@progbits,_ZN7rocprim17ROCPRIM_304000_NS6detail18single_scan_kernelILb1ENS1_19wrapped_scan_configINS0_14default_configElEEPKlPlN2at4cuda3cub12_GLOBAL__N_15SumOpIlEEllEEvT1_mT4_T2_T3_,comdat
	.globl	_ZN7rocprim17ROCPRIM_304000_NS6detail18single_scan_kernelILb1ENS1_19wrapped_scan_configINS0_14default_configElEEPKlPlN2at4cuda3cub12_GLOBAL__N_15SumOpIlEEllEEvT1_mT4_T2_T3_ ; -- Begin function _ZN7rocprim17ROCPRIM_304000_NS6detail18single_scan_kernelILb1ENS1_19wrapped_scan_configINS0_14default_configElEEPKlPlN2at4cuda3cub12_GLOBAL__N_15SumOpIlEEllEEvT1_mT4_T2_T3_
	.p2align	8
	.type	_ZN7rocprim17ROCPRIM_304000_NS6detail18single_scan_kernelILb1ENS1_19wrapped_scan_configINS0_14default_configElEEPKlPlN2at4cuda3cub12_GLOBAL__N_15SumOpIlEEllEEvT1_mT4_T2_T3_,@function
_ZN7rocprim17ROCPRIM_304000_NS6detail18single_scan_kernelILb1ENS1_19wrapped_scan_configINS0_14default_configElEEPKlPlN2at4cuda3cub12_GLOBAL__N_15SumOpIlEEllEEvT1_mT4_T2_T3_: ; @_ZN7rocprim17ROCPRIM_304000_NS6detail18single_scan_kernelILb1ENS1_19wrapped_scan_configINS0_14default_configElEEPKlPlN2at4cuda3cub12_GLOBAL__N_15SumOpIlEEllEEvT1_mT4_T2_T3_
; %bb.0:
	s_load_dwordx8 s[68:75], s[0:1], 0x0
	v_mov_b32_e32 v35, 0
	v_lshlrev_b32_e32 v34, 3, v0
	s_waitcnt lgkmcnt(0)
	s_load_dwordx2 s[36:37], s[68:69], 0x0
	v_lshl_add_u64 v[36:37], s[68:69], 0, v[34:35]
	v_cmp_gt_u32_e64 s[0:1], s70, v0
	s_waitcnt lgkmcnt(0)
	s_mov_b32 s38, s36
	s_mov_b32 s39, s37
	;; [unrolled: 1-line block ×28, first 2 shown]
	v_mov_b64_e32 v[2:3], s[36:37]
	v_mov_b64_e32 v[4:5], s[38:39]
	v_mov_b64_e32 v[6:7], s[40:41]
	v_mov_b64_e32 v[8:9], s[42:43]
	v_mov_b64_e32 v[10:11], s[44:45]
	v_mov_b64_e32 v[12:13], s[46:47]
	v_mov_b64_e32 v[14:15], s[48:49]
	v_mov_b64_e32 v[16:17], s[50:51]
	v_mov_b64_e32 v[18:19], s[52:53]
	v_mov_b64_e32 v[20:21], s[54:55]
	v_mov_b64_e32 v[22:23], s[56:57]
	v_mov_b64_e32 v[24:25], s[58:59]
	v_mov_b64_e32 v[26:27], s[60:61]
	v_mov_b64_e32 v[28:29], s[62:63]
	v_mov_b64_e32 v[30:31], s[64:65]
	v_mov_b64_e32 v[32:33], s[66:67]
	s_and_saveexec_b64 s[2:3], s[0:1]
	s_cbranch_execz .LBB20_2
; %bb.1:
	global_load_dwordx2 v[2:3], v[36:37], off
	v_mov_b32_e32 v4, s36
	v_mov_b32_e32 v5, s37
	;; [unrolled: 1-line block ×28, first 2 shown]
.LBB20_2:
	s_or_b64 exec, exec, s[2:3]
	v_or_b32_e32 v1, 0x100, v0
	v_cmp_gt_u32_e64 s[2:3], s70, v1
	s_and_saveexec_b64 s[4:5], s[2:3]
	s_cbranch_execz .LBB20_4
; %bb.3:
	global_load_dwordx2 v[4:5], v[36:37], off offset:2048
.LBB20_4:
	s_or_b64 exec, exec, s[4:5]
	v_or_b32_e32 v1, 0x200, v0
	v_cmp_gt_u32_e64 s[4:5], s70, v1
	s_and_saveexec_b64 s[6:7], s[4:5]
	s_cbranch_execz .LBB20_6
; %bb.5:
	v_add_co_u32_e32 v6, vcc, 0x1000, v36
	s_nop 1
	v_addc_co_u32_e32 v7, vcc, 0, v37, vcc
	global_load_dwordx2 v[6:7], v[6:7], off
.LBB20_6:
	s_or_b64 exec, exec, s[6:7]
	v_or_b32_e32 v1, 0x300, v0
	v_cmp_gt_u32_e64 s[6:7], s70, v1
	s_and_saveexec_b64 s[8:9], s[6:7]
	s_cbranch_execz .LBB20_8
; %bb.7:
	v_add_co_u32_e32 v8, vcc, 0x1000, v36
	s_nop 1
	v_addc_co_u32_e32 v9, vcc, 0, v37, vcc
	global_load_dwordx2 v[8:9], v[8:9], off offset:2048
.LBB20_8:
	s_or_b64 exec, exec, s[8:9]
	v_or_b32_e32 v1, 0x400, v0
	v_cmp_gt_u32_e64 s[8:9], s70, v1
	s_and_saveexec_b64 s[10:11], s[8:9]
	s_cbranch_execz .LBB20_10
; %bb.9:
	v_add_co_u32_e32 v10, vcc, 0x2000, v36
	s_nop 1
	v_addc_co_u32_e32 v11, vcc, 0, v37, vcc
	global_load_dwordx2 v[10:11], v[10:11], off
.LBB20_10:
	s_or_b64 exec, exec, s[10:11]
	v_or_b32_e32 v1, 0x500, v0
	v_cmp_gt_u32_e64 s[10:11], s70, v1
	s_and_saveexec_b64 s[12:13], s[10:11]
	s_cbranch_execz .LBB20_12
; %bb.11:
	v_add_co_u32_e32 v12, vcc, 0x2000, v36
	s_nop 1
	v_addc_co_u32_e32 v13, vcc, 0, v37, vcc
	global_load_dwordx2 v[12:13], v[12:13], off offset:2048
.LBB20_12:
	;; [unrolled: 22-line block ×6, first 2 shown]
	s_or_b64 exec, exec, s[28:29]
	v_or_b32_e32 v1, 0xe00, v0
	v_cmp_gt_u32_e64 s[28:29], s70, v1
	s_and_saveexec_b64 s[30:31], s[28:29]
	s_cbranch_execz .LBB20_30
; %bb.29:
	v_add_co_u32_e32 v30, vcc, 0x7000, v36
	s_nop 1
	v_addc_co_u32_e32 v31, vcc, 0, v37, vcc
	global_load_dwordx2 v[30:31], v[30:31], off
.LBB20_30:
	s_or_b64 exec, exec, s[30:31]
	s_movk_i32 s30, 0x70
	v_mad_u32_u24 v1, v0, s30, v34
	s_waitcnt vmcnt(0)
	ds_write2st64_b64 v34, v[2:3], v[4:5] offset1:4
	ds_write2st64_b64 v34, v[6:7], v[8:9] offset0:8 offset1:12
	ds_write2st64_b64 v34, v[10:11], v[12:13] offset0:16 offset1:20
	;; [unrolled: 1-line block ×6, first 2 shown]
	ds_write_b64 v34, v[30:31] offset:28672
	s_waitcnt lgkmcnt(0)
	s_barrier
	ds_read2_b64 v[2:5], v1 offset1:1
	ds_read2_b64 v[6:9], v1 offset0:2 offset1:3
	ds_read2_b64 v[10:13], v1 offset0:4 offset1:5
	ds_read2_b64 v[14:17], v1 offset0:6 offset1:7
	ds_read2_b64 v[18:21], v1 offset0:8 offset1:9
	ds_read2_b64 v[22:25], v1 offset0:10 offset1:11
	ds_read2_b64 v[26:29], v1 offset0:12 offset1:13
	ds_read_b64 v[30:31], v1 offset:112
	s_waitcnt lgkmcnt(7)
	v_lshl_add_u64 v[32:33], v[4:5], 0, v[2:3]
	s_waitcnt lgkmcnt(6)
	v_lshl_add_u64 v[32:33], v[32:33], 0, v[6:7]
	v_lshl_add_u64 v[32:33], v[32:33], 0, v[8:9]
	s_waitcnt lgkmcnt(5)
	v_lshl_add_u64 v[32:33], v[32:33], 0, v[10:11]
	;; [unrolled: 3-line block ×6, first 2 shown]
	v_lshrrev_b32_e32 v1, 2, v0
	v_lshl_add_u64 v[32:33], v[32:33], 0, v[28:29]
	v_and_b32_e32 v1, 56, v1
	s_waitcnt lgkmcnt(0)
	v_lshl_add_u64 v[30:31], v[32:33], 0, v[30:31]
	v_add_u32_e32 v1, v34, v1
	v_cmp_gt_u32_e32 vcc, 64, v0
	s_barrier
	ds_write_b64 v1, v[30:31]
	s_waitcnt lgkmcnt(0)
	s_barrier
	s_and_saveexec_b64 s[30:31], vcc
	s_cbranch_execz .LBB20_32
; %bb.31:
	v_lshlrev_b32_e32 v1, 2, v0
	v_lshrrev_b32_e32 v32, 3, v0
	v_add_lshl_u32 v1, v32, v1, 3
	ds_read2_b64 v[36:39], v1 offset1:1
	ds_read2_b64 v[40:43], v1 offset0:2 offset1:3
	v_mbcnt_lo_u32_b32 v33, -1, 0
	v_mov_b32_e32 v32, 0
	v_mbcnt_hi_u32_b32 v35, -1, v33
	s_waitcnt lgkmcnt(1)
	v_lshl_add_u64 v[44:45], v[38:39], 0, v[36:37]
	s_waitcnt lgkmcnt(0)
	v_lshl_add_u64 v[44:45], v[44:45], 0, v[40:41]
	v_lshl_add_u64 v[44:45], v[44:45], 0, v[42:43]
	v_and_b32_e32 v50, 15, v35
	v_mov_b32_e32 v47, v32
	v_mov_b32_dpp v46, v44 row_shr:1 row_mask:0xf bank_mask:0xf
	v_mov_b32_dpp v33, v45 row_shr:1 row_mask:0xf bank_mask:0xf
	v_lshl_add_u64 v[46:47], v[44:45], 0, v[46:47]
	v_cmp_eq_u32_e32 vcc, 0, v50
	v_lshl_add_u64 v[48:49], v[32:33], 0, v[46:47]
	v_mov_b32_e32 v47, v32
	v_cndmask_b32_e32 v51, v46, v44, vcc
	v_cndmask_b32_e32 v45, v49, v45, vcc
	v_cndmask_b32_e32 v44, v48, v44, vcc
	v_mov_b32_dpp v46, v51 row_shr:2 row_mask:0xf bank_mask:0xf
	v_mov_b32_dpp v33, v45 row_shr:2 row_mask:0xf bank_mask:0xf
	v_lshl_add_u64 v[46:47], v[44:45], 0, v[46:47]
	v_cmp_lt_u32_e32 vcc, 1, v50
	v_lshl_add_u64 v[48:49], v[46:47], 0, v[32:33]
	v_mov_b32_e32 v47, v32
	v_cndmask_b32_e32 v51, v51, v46, vcc
	v_cndmask_b32_e32 v45, v45, v49, vcc
	v_cndmask_b32_e32 v44, v44, v48, vcc
	v_mov_b32_dpp v46, v51 row_shr:4 row_mask:0xf bank_mask:0xf
	v_mov_b32_dpp v33, v45 row_shr:4 row_mask:0xf bank_mask:0xf
	v_lshl_add_u64 v[46:47], v[44:45], 0, v[46:47]
	v_cmp_lt_u32_e32 vcc, 3, v50
	;; [unrolled: 9-line block ×3, first 2 shown]
	v_lshl_add_u64 v[48:49], v[46:47], 0, v[32:33]
	v_mov_b32_e32 v47, v32
	v_cndmask_b32_e32 v50, v51, v46, vcc
	v_cndmask_b32_e32 v45, v45, v49, vcc
	;; [unrolled: 1-line block ×3, first 2 shown]
	v_mov_b32_dpp v46, v50 row_bcast:15 row_mask:0xf bank_mask:0xf
	v_and_b32_e32 v51, 16, v35
	v_mov_b32_dpp v33, v45 row_bcast:15 row_mask:0xf bank_mask:0xf
	v_lshl_add_u64 v[46:47], v[44:45], 0, v[46:47]
	v_cmp_eq_u32_e32 vcc, 0, v51
	v_lshl_add_u64 v[48:49], v[46:47], 0, v[32:33]
	v_mov_b32_e32 v47, v32
	v_cndmask_b32_e32 v33, v46, v50, vcc
	v_cndmask_b32_e32 v45, v49, v45, vcc
	;; [unrolled: 1-line block ×3, first 2 shown]
	v_mov_b32_dpp v46, v33 row_bcast:31 row_mask:0xf bank_mask:0xf
	v_mov_b32_dpp v48, v45 row_bcast:31 row_mask:0xf bank_mask:0xf
	v_lshl_add_u64 v[46:47], v[44:45], 0, v[46:47]
	v_add_u32_e32 v44, v48, v47
	v_cmp_lt_u32_e32 vcc, 31, v35
	s_nop 1
	v_cndmask_b32_e32 v33, v33, v46, vcc
	v_cndmask_b32_e32 v45, v45, v44, vcc
	v_add_u32_e32 v44, -1, v35
	v_and_b32_e32 v46, 64, v35
	v_cmp_lt_i32_e32 vcc, v44, v46
	s_nop 1
	v_cndmask_b32_e32 v35, v44, v35, vcc
	v_lshlrev_b32_e32 v35, 2, v35
	ds_bpermute_b32 v44, v35, v33
	ds_bpermute_b32 v33, v35, v45
	v_mov_b32_e32 v45, v32
	v_cmp_eq_u32_e32 vcc, 0, v0
	s_waitcnt lgkmcnt(1)
	v_lshl_add_u64 v[36:37], v[36:37], 0, v[44:45]
	s_waitcnt lgkmcnt(0)
	v_lshl_add_u64 v[32:33], v[36:37], 0, v[32:33]
	v_cndmask_b32_e32 v31, v33, v31, vcc
	v_cndmask_b32_e32 v30, v32, v30, vcc
	v_lshl_add_u64 v[32:33], v[30:31], 0, v[38:39]
	ds_write2_b64 v1, v[30:31], v[32:33] offset1:1
	v_lshl_add_u64 v[30:31], v[32:33], 0, v[40:41]
	v_lshl_add_u64 v[32:33], v[30:31], 0, v[42:43]
	ds_write2_b64 v1, v[30:31], v[32:33] offset0:2 offset1:3
.LBB20_32:
	s_or_b64 exec, exec, s[30:31]
	v_mul_u32_u24_e32 v1, 0x70, v0
	v_cmp_ne_u32_e32 vcc, 0, v0
	v_mov_b64_e32 v[30:31], s[72:73]
	s_waitcnt lgkmcnt(0)
	s_barrier
	s_and_saveexec_b64 s[30:31], vcc
	s_cbranch_execz .LBB20_34
; %bb.33:
	v_add_u32_e32 v0, -1, v0
	v_lshrrev_b32_e32 v30, 5, v0
	v_add_lshl_u32 v0, v30, v0, 3
	ds_read_b64 v[30:31], v0
	s_waitcnt lgkmcnt(0)
	v_lshl_add_u64 v[30:31], v[30:31], 0, s[72:73]
.LBB20_34:
	s_or_b64 exec, exec, s[30:31]
	v_lshl_add_u64 v[2:3], v[30:31], 0, v[2:3]
	v_lshl_add_u64 v[4:5], v[2:3], 0, v[4:5]
	;; [unrolled: 1-line block ×13, first 2 shown]
	v_add_u32_e32 v0, v34, v1
	v_lshl_add_u64 v[28:29], v[26:27], 0, v[28:29]
	s_barrier
	ds_write2_b64 v0, v[30:31], v[2:3] offset1:1
	ds_write2_b64 v0, v[4:5], v[6:7] offset0:2 offset1:3
	ds_write2_b64 v0, v[8:9], v[10:11] offset0:4 offset1:5
	;; [unrolled: 1-line block ×6, first 2 shown]
	ds_write_b64 v0, v[28:29] offset:112
	s_waitcnt lgkmcnt(0)
	s_barrier
	ds_read2st64_b64 v[24:27], v34 offset0:4 offset1:8
	ds_read2st64_b64 v[20:23], v34 offset0:12 offset1:16
	;; [unrolled: 1-line block ×7, first 2 shown]
	v_mov_b32_e32 v35, 0
	v_lshl_add_u64 v[28:29], s[74:75], 0, v[34:35]
	s_and_saveexec_b64 s[30:31], s[0:1]
	s_cbranch_execnz .LBB20_50
; %bb.35:
	s_or_b64 exec, exec, s[30:31]
	s_and_saveexec_b64 s[0:1], s[2:3]
	s_cbranch_execnz .LBB20_51
.LBB20_36:
	s_or_b64 exec, exec, s[0:1]
	s_and_saveexec_b64 s[0:1], s[4:5]
	s_cbranch_execnz .LBB20_52
.LBB20_37:
	s_or_b64 exec, exec, s[0:1]
	s_and_saveexec_b64 s[0:1], s[6:7]
	s_cbranch_execnz .LBB20_53
.LBB20_38:
	s_or_b64 exec, exec, s[0:1]
	s_and_saveexec_b64 s[0:1], s[8:9]
	s_cbranch_execnz .LBB20_54
.LBB20_39:
	s_or_b64 exec, exec, s[0:1]
	s_and_saveexec_b64 s[0:1], s[10:11]
	s_cbranch_execnz .LBB20_55
.LBB20_40:
	s_or_b64 exec, exec, s[0:1]
	s_and_saveexec_b64 s[0:1], s[12:13]
	s_cbranch_execnz .LBB20_56
.LBB20_41:
	s_or_b64 exec, exec, s[0:1]
	s_and_saveexec_b64 s[0:1], s[14:15]
	s_cbranch_execnz .LBB20_57
.LBB20_42:
	s_or_b64 exec, exec, s[0:1]
	s_and_saveexec_b64 s[0:1], s[16:17]
	s_cbranch_execnz .LBB20_58
.LBB20_43:
	s_or_b64 exec, exec, s[0:1]
	s_and_saveexec_b64 s[0:1], s[18:19]
	s_cbranch_execnz .LBB20_59
.LBB20_44:
	s_or_b64 exec, exec, s[0:1]
	s_and_saveexec_b64 s[0:1], s[20:21]
	s_cbranch_execnz .LBB20_60
.LBB20_45:
	s_or_b64 exec, exec, s[0:1]
	s_and_saveexec_b64 s[0:1], s[22:23]
	s_cbranch_execnz .LBB20_61
.LBB20_46:
	s_or_b64 exec, exec, s[0:1]
	s_and_saveexec_b64 s[0:1], s[24:25]
	s_cbranch_execnz .LBB20_62
.LBB20_47:
	s_or_b64 exec, exec, s[0:1]
	s_and_saveexec_b64 s[0:1], s[26:27]
	s_cbranch_execnz .LBB20_63
.LBB20_48:
	s_or_b64 exec, exec, s[0:1]
	s_and_saveexec_b64 s[0:1], s[28:29]
	s_cbranch_execnz .LBB20_64
.LBB20_49:
	s_endpgm
.LBB20_50:
	ds_read_b64 v[30:31], v34
	s_waitcnt lgkmcnt(0)
	global_store_dwordx2 v[28:29], v[30:31], off
	s_or_b64 exec, exec, s[30:31]
	s_and_saveexec_b64 s[0:1], s[2:3]
	s_cbranch_execz .LBB20_36
.LBB20_51:
	s_waitcnt lgkmcnt(6)
	global_store_dwordx2 v[28:29], v[24:25], off offset:2048
	s_or_b64 exec, exec, s[0:1]
	s_and_saveexec_b64 s[0:1], s[4:5]
	s_cbranch_execz .LBB20_37
.LBB20_52:
	s_waitcnt lgkmcnt(6)
	v_add_co_u32_e32 v24, vcc, 0x1000, v28
	s_nop 1
	v_addc_co_u32_e32 v25, vcc, 0, v29, vcc
	global_store_dwordx2 v[24:25], v[26:27], off
	s_or_b64 exec, exec, s[0:1]
	s_and_saveexec_b64 s[0:1], s[6:7]
	s_cbranch_execz .LBB20_38
.LBB20_53:
	s_waitcnt lgkmcnt(6)
	v_add_co_u32_e32 v24, vcc, 0x1000, v28
	s_nop 1
	v_addc_co_u32_e32 v25, vcc, 0, v29, vcc
	s_waitcnt lgkmcnt(5)
	global_store_dwordx2 v[24:25], v[20:21], off offset:2048
	s_or_b64 exec, exec, s[0:1]
	s_and_saveexec_b64 s[0:1], s[8:9]
	s_cbranch_execz .LBB20_39
.LBB20_54:
	s_waitcnt lgkmcnt(5)
	v_add_co_u32_e32 v20, vcc, 0x2000, v28
	s_nop 1
	v_addc_co_u32_e32 v21, vcc, 0, v29, vcc
	global_store_dwordx2 v[20:21], v[22:23], off
	s_or_b64 exec, exec, s[0:1]
	s_and_saveexec_b64 s[0:1], s[10:11]
	s_cbranch_execz .LBB20_40
.LBB20_55:
	s_waitcnt lgkmcnt(5)
	v_add_co_u32_e32 v20, vcc, 0x2000, v28
	s_nop 1
	v_addc_co_u32_e32 v21, vcc, 0, v29, vcc
	s_waitcnt lgkmcnt(4)
	global_store_dwordx2 v[20:21], v[16:17], off offset:2048
	s_or_b64 exec, exec, s[0:1]
	s_and_saveexec_b64 s[0:1], s[12:13]
	s_cbranch_execz .LBB20_41
.LBB20_56:
	s_waitcnt lgkmcnt(4)
	v_add_co_u32_e32 v16, vcc, 0x3000, v28
	s_nop 1
	v_addc_co_u32_e32 v17, vcc, 0, v29, vcc
	global_store_dwordx2 v[16:17], v[18:19], off
	s_or_b64 exec, exec, s[0:1]
	s_and_saveexec_b64 s[0:1], s[14:15]
	s_cbranch_execz .LBB20_42
.LBB20_57:
	s_waitcnt lgkmcnt(4)
	v_add_co_u32_e32 v16, vcc, 0x3000, v28
	s_nop 1
	v_addc_co_u32_e32 v17, vcc, 0, v29, vcc
	s_waitcnt lgkmcnt(3)
	global_store_dwordx2 v[16:17], v[12:13], off offset:2048
	s_or_b64 exec, exec, s[0:1]
	s_and_saveexec_b64 s[0:1], s[16:17]
	s_cbranch_execz .LBB20_43
.LBB20_58:
	s_waitcnt lgkmcnt(3)
	v_add_co_u32_e32 v12, vcc, 0x4000, v28
	s_nop 1
	v_addc_co_u32_e32 v13, vcc, 0, v29, vcc
	global_store_dwordx2 v[12:13], v[14:15], off
	s_or_b64 exec, exec, s[0:1]
	s_and_saveexec_b64 s[0:1], s[18:19]
	s_cbranch_execz .LBB20_44
.LBB20_59:
	s_waitcnt lgkmcnt(3)
	v_add_co_u32_e32 v12, vcc, 0x4000, v28
	s_nop 1
	v_addc_co_u32_e32 v13, vcc, 0, v29, vcc
	s_waitcnt lgkmcnt(2)
	global_store_dwordx2 v[12:13], v[8:9], off offset:2048
	s_or_b64 exec, exec, s[0:1]
	s_and_saveexec_b64 s[0:1], s[20:21]
	s_cbranch_execz .LBB20_45
.LBB20_60:
	s_waitcnt lgkmcnt(2)
	v_add_co_u32_e32 v8, vcc, 0x5000, v28
	s_nop 1
	v_addc_co_u32_e32 v9, vcc, 0, v29, vcc
	global_store_dwordx2 v[8:9], v[10:11], off
	s_or_b64 exec, exec, s[0:1]
	s_and_saveexec_b64 s[0:1], s[22:23]
	s_cbranch_execz .LBB20_46
.LBB20_61:
	s_waitcnt lgkmcnt(2)
	v_add_co_u32_e32 v8, vcc, 0x5000, v28
	s_nop 1
	v_addc_co_u32_e32 v9, vcc, 0, v29, vcc
	s_waitcnt lgkmcnt(1)
	global_store_dwordx2 v[8:9], v[4:5], off offset:2048
	s_or_b64 exec, exec, s[0:1]
	s_and_saveexec_b64 s[0:1], s[24:25]
	s_cbranch_execz .LBB20_47
.LBB20_62:
	s_waitcnt lgkmcnt(1)
	v_add_co_u32_e32 v4, vcc, 0x6000, v28
	s_nop 1
	v_addc_co_u32_e32 v5, vcc, 0, v29, vcc
	global_store_dwordx2 v[4:5], v[6:7], off
	s_or_b64 exec, exec, s[0:1]
	s_and_saveexec_b64 s[0:1], s[26:27]
	s_cbranch_execz .LBB20_48
.LBB20_63:
	s_waitcnt lgkmcnt(1)
	v_add_co_u32_e32 v4, vcc, 0x6000, v28
	s_nop 1
	v_addc_co_u32_e32 v5, vcc, 0, v29, vcc
	s_waitcnt lgkmcnt(0)
	global_store_dwordx2 v[4:5], v[0:1], off offset:2048
	s_or_b64 exec, exec, s[0:1]
	s_and_saveexec_b64 s[0:1], s[28:29]
	s_cbranch_execz .LBB20_49
.LBB20_64:
	s_waitcnt lgkmcnt(0)
	v_add_co_u32_e32 v0, vcc, 0x7000, v28
	s_nop 1
	v_addc_co_u32_e32 v1, vcc, 0, v29, vcc
	global_store_dwordx2 v[0:1], v[2:3], off
	s_endpgm
	.section	.rodata,"a",@progbits
	.p2align	6, 0x0
	.amdhsa_kernel _ZN7rocprim17ROCPRIM_304000_NS6detail18single_scan_kernelILb1ENS1_19wrapped_scan_configINS0_14default_configElEEPKlPlN2at4cuda3cub12_GLOBAL__N_15SumOpIlEEllEEvT1_mT4_T2_T3_
		.amdhsa_group_segment_fixed_size 30720
		.amdhsa_private_segment_fixed_size 0
		.amdhsa_kernarg_size 36
		.amdhsa_user_sgpr_count 2
		.amdhsa_user_sgpr_dispatch_ptr 0
		.amdhsa_user_sgpr_queue_ptr 0
		.amdhsa_user_sgpr_kernarg_segment_ptr 1
		.amdhsa_user_sgpr_dispatch_id 0
		.amdhsa_user_sgpr_kernarg_preload_length 0
		.amdhsa_user_sgpr_kernarg_preload_offset 0
		.amdhsa_user_sgpr_private_segment_size 0
		.amdhsa_uses_dynamic_stack 0
		.amdhsa_enable_private_segment 0
		.amdhsa_system_sgpr_workgroup_id_x 1
		.amdhsa_system_sgpr_workgroup_id_y 0
		.amdhsa_system_sgpr_workgroup_id_z 0
		.amdhsa_system_sgpr_workgroup_info 0
		.amdhsa_system_vgpr_workitem_id 0
		.amdhsa_next_free_vgpr 52
		.amdhsa_next_free_sgpr 76
		.amdhsa_accum_offset 52
		.amdhsa_reserve_vcc 1
		.amdhsa_float_round_mode_32 0
		.amdhsa_float_round_mode_16_64 0
		.amdhsa_float_denorm_mode_32 3
		.amdhsa_float_denorm_mode_16_64 3
		.amdhsa_dx10_clamp 1
		.amdhsa_ieee_mode 1
		.amdhsa_fp16_overflow 0
		.amdhsa_tg_split 0
		.amdhsa_exception_fp_ieee_invalid_op 0
		.amdhsa_exception_fp_denorm_src 0
		.amdhsa_exception_fp_ieee_div_zero 0
		.amdhsa_exception_fp_ieee_overflow 0
		.amdhsa_exception_fp_ieee_underflow 0
		.amdhsa_exception_fp_ieee_inexact 0
		.amdhsa_exception_int_div_zero 0
	.end_amdhsa_kernel
	.section	.text._ZN7rocprim17ROCPRIM_304000_NS6detail18single_scan_kernelILb1ENS1_19wrapped_scan_configINS0_14default_configElEEPKlPlN2at4cuda3cub12_GLOBAL__N_15SumOpIlEEllEEvT1_mT4_T2_T3_,"axG",@progbits,_ZN7rocprim17ROCPRIM_304000_NS6detail18single_scan_kernelILb1ENS1_19wrapped_scan_configINS0_14default_configElEEPKlPlN2at4cuda3cub12_GLOBAL__N_15SumOpIlEEllEEvT1_mT4_T2_T3_,comdat
.Lfunc_end20:
	.size	_ZN7rocprim17ROCPRIM_304000_NS6detail18single_scan_kernelILb1ENS1_19wrapped_scan_configINS0_14default_configElEEPKlPlN2at4cuda3cub12_GLOBAL__N_15SumOpIlEEllEEvT1_mT4_T2_T3_, .Lfunc_end20-_ZN7rocprim17ROCPRIM_304000_NS6detail18single_scan_kernelILb1ENS1_19wrapped_scan_configINS0_14default_configElEEPKlPlN2at4cuda3cub12_GLOBAL__N_15SumOpIlEEllEEvT1_mT4_T2_T3_
                                        ; -- End function
	.section	.AMDGPU.csdata,"",@progbits
; Kernel info:
; codeLenInByte = 3036
; NumSgprs: 82
; NumVgprs: 52
; NumAgprs: 0
; TotalNumVgprs: 52
; ScratchSize: 0
; MemoryBound: 1
; FloatMode: 240
; IeeeMode: 1
; LDSByteSize: 30720 bytes/workgroup (compile time only)
; SGPRBlocks: 10
; VGPRBlocks: 6
; NumSGPRsForWavesPerEU: 82
; NumVGPRsForWavesPerEU: 52
; AccumOffset: 52
; Occupancy: 2
; WaveLimiterHint : 0
; COMPUTE_PGM_RSRC2:SCRATCH_EN: 0
; COMPUTE_PGM_RSRC2:USER_SGPR: 2
; COMPUTE_PGM_RSRC2:TRAP_HANDLER: 0
; COMPUTE_PGM_RSRC2:TGID_X_EN: 1
; COMPUTE_PGM_RSRC2:TGID_Y_EN: 0
; COMPUTE_PGM_RSRC2:TGID_Z_EN: 0
; COMPUTE_PGM_RSRC2:TIDIG_COMP_CNT: 0
; COMPUTE_PGM_RSRC3_GFX90A:ACCUM_OFFSET: 12
; COMPUTE_PGM_RSRC3_GFX90A:TG_SPLIT: 0
	.section	.text._ZN7rocprim17ROCPRIM_304000_NS6detail20lookback_scan_kernelILNS1_25lookback_scan_determinismE0ELb1ENS1_19wrapped_scan_configINS0_14default_configElEEN6hipcub22TransformInputIteratorIbN2at4cuda3cub12_GLOBAL__N_111CountMaskOpEPKhlEEPlNSC_5SumOpIlEEllNS1_19lookback_scan_stateIlLb1ELb1EEEEEvT2_T3_mT5_T4_T7_jPT6_SS_bb,"axG",@progbits,_ZN7rocprim17ROCPRIM_304000_NS6detail20lookback_scan_kernelILNS1_25lookback_scan_determinismE0ELb1ENS1_19wrapped_scan_configINS0_14default_configElEEN6hipcub22TransformInputIteratorIbN2at4cuda3cub12_GLOBAL__N_111CountMaskOpEPKhlEEPlNSC_5SumOpIlEEllNS1_19lookback_scan_stateIlLb1ELb1EEEEEvT2_T3_mT5_T4_T7_jPT6_SS_bb,comdat
	.globl	_ZN7rocprim17ROCPRIM_304000_NS6detail20lookback_scan_kernelILNS1_25lookback_scan_determinismE0ELb1ENS1_19wrapped_scan_configINS0_14default_configElEEN6hipcub22TransformInputIteratorIbN2at4cuda3cub12_GLOBAL__N_111CountMaskOpEPKhlEEPlNSC_5SumOpIlEEllNS1_19lookback_scan_stateIlLb1ELb1EEEEEvT2_T3_mT5_T4_T7_jPT6_SS_bb ; -- Begin function _ZN7rocprim17ROCPRIM_304000_NS6detail20lookback_scan_kernelILNS1_25lookback_scan_determinismE0ELb1ENS1_19wrapped_scan_configINS0_14default_configElEEN6hipcub22TransformInputIteratorIbN2at4cuda3cub12_GLOBAL__N_111CountMaskOpEPKhlEEPlNSC_5SumOpIlEEllNS1_19lookback_scan_stateIlLb1ELb1EEEEEvT2_T3_mT5_T4_T7_jPT6_SS_bb
	.p2align	8
	.type	_ZN7rocprim17ROCPRIM_304000_NS6detail20lookback_scan_kernelILNS1_25lookback_scan_determinismE0ELb1ENS1_19wrapped_scan_configINS0_14default_configElEEN6hipcub22TransformInputIteratorIbN2at4cuda3cub12_GLOBAL__N_111CountMaskOpEPKhlEEPlNSC_5SumOpIlEEllNS1_19lookback_scan_stateIlLb1ELb1EEEEEvT2_T3_mT5_T4_T7_jPT6_SS_bb,@function
_ZN7rocprim17ROCPRIM_304000_NS6detail20lookback_scan_kernelILNS1_25lookback_scan_determinismE0ELb1ENS1_19wrapped_scan_configINS0_14default_configElEEN6hipcub22TransformInputIteratorIbN2at4cuda3cub12_GLOBAL__N_111CountMaskOpEPKhlEEPlNSC_5SumOpIlEEllNS1_19lookback_scan_stateIlLb1ELb1EEEEEvT2_T3_mT5_T4_T7_jPT6_SS_bb: ; @_ZN7rocprim17ROCPRIM_304000_NS6detail20lookback_scan_kernelILNS1_25lookback_scan_determinismE0ELb1ENS1_19wrapped_scan_configINS0_14default_configElEEN6hipcub22TransformInputIteratorIbN2at4cuda3cub12_GLOBAL__N_111CountMaskOpEPKhlEEPlNSC_5SumOpIlEEllNS1_19lookback_scan_stateIlLb1ELb1EEEEEvT2_T3_mT5_T4_T7_jPT6_SS_bb
; %bb.0:
	s_endpgm
	.section	.rodata,"a",@progbits
	.p2align	6, 0x0
	.amdhsa_kernel _ZN7rocprim17ROCPRIM_304000_NS6detail20lookback_scan_kernelILNS1_25lookback_scan_determinismE0ELb1ENS1_19wrapped_scan_configINS0_14default_configElEEN6hipcub22TransformInputIteratorIbN2at4cuda3cub12_GLOBAL__N_111CountMaskOpEPKhlEEPlNSC_5SumOpIlEEllNS1_19lookback_scan_stateIlLb1ELb1EEEEEvT2_T3_mT5_T4_T7_jPT6_SS_bb
		.amdhsa_group_segment_fixed_size 0
		.amdhsa_private_segment_fixed_size 0
		.amdhsa_kernarg_size 84
		.amdhsa_user_sgpr_count 2
		.amdhsa_user_sgpr_dispatch_ptr 0
		.amdhsa_user_sgpr_queue_ptr 0
		.amdhsa_user_sgpr_kernarg_segment_ptr 1
		.amdhsa_user_sgpr_dispatch_id 0
		.amdhsa_user_sgpr_kernarg_preload_length 0
		.amdhsa_user_sgpr_kernarg_preload_offset 0
		.amdhsa_user_sgpr_private_segment_size 0
		.amdhsa_uses_dynamic_stack 0
		.amdhsa_enable_private_segment 0
		.amdhsa_system_sgpr_workgroup_id_x 1
		.amdhsa_system_sgpr_workgroup_id_y 0
		.amdhsa_system_sgpr_workgroup_id_z 0
		.amdhsa_system_sgpr_workgroup_info 0
		.amdhsa_system_vgpr_workitem_id 0
		.amdhsa_next_free_vgpr 1
		.amdhsa_next_free_sgpr 0
		.amdhsa_accum_offset 4
		.amdhsa_reserve_vcc 0
		.amdhsa_float_round_mode_32 0
		.amdhsa_float_round_mode_16_64 0
		.amdhsa_float_denorm_mode_32 3
		.amdhsa_float_denorm_mode_16_64 3
		.amdhsa_dx10_clamp 1
		.amdhsa_ieee_mode 1
		.amdhsa_fp16_overflow 0
		.amdhsa_tg_split 0
		.amdhsa_exception_fp_ieee_invalid_op 0
		.amdhsa_exception_fp_denorm_src 0
		.amdhsa_exception_fp_ieee_div_zero 0
		.amdhsa_exception_fp_ieee_overflow 0
		.amdhsa_exception_fp_ieee_underflow 0
		.amdhsa_exception_fp_ieee_inexact 0
		.amdhsa_exception_int_div_zero 0
	.end_amdhsa_kernel
	.section	.text._ZN7rocprim17ROCPRIM_304000_NS6detail20lookback_scan_kernelILNS1_25lookback_scan_determinismE0ELb1ENS1_19wrapped_scan_configINS0_14default_configElEEN6hipcub22TransformInputIteratorIbN2at4cuda3cub12_GLOBAL__N_111CountMaskOpEPKhlEEPlNSC_5SumOpIlEEllNS1_19lookback_scan_stateIlLb1ELb1EEEEEvT2_T3_mT5_T4_T7_jPT6_SS_bb,"axG",@progbits,_ZN7rocprim17ROCPRIM_304000_NS6detail20lookback_scan_kernelILNS1_25lookback_scan_determinismE0ELb1ENS1_19wrapped_scan_configINS0_14default_configElEEN6hipcub22TransformInputIteratorIbN2at4cuda3cub12_GLOBAL__N_111CountMaskOpEPKhlEEPlNSC_5SumOpIlEEllNS1_19lookback_scan_stateIlLb1ELb1EEEEEvT2_T3_mT5_T4_T7_jPT6_SS_bb,comdat
.Lfunc_end21:
	.size	_ZN7rocprim17ROCPRIM_304000_NS6detail20lookback_scan_kernelILNS1_25lookback_scan_determinismE0ELb1ENS1_19wrapped_scan_configINS0_14default_configElEEN6hipcub22TransformInputIteratorIbN2at4cuda3cub12_GLOBAL__N_111CountMaskOpEPKhlEEPlNSC_5SumOpIlEEllNS1_19lookback_scan_stateIlLb1ELb1EEEEEvT2_T3_mT5_T4_T7_jPT6_SS_bb, .Lfunc_end21-_ZN7rocprim17ROCPRIM_304000_NS6detail20lookback_scan_kernelILNS1_25lookback_scan_determinismE0ELb1ENS1_19wrapped_scan_configINS0_14default_configElEEN6hipcub22TransformInputIteratorIbN2at4cuda3cub12_GLOBAL__N_111CountMaskOpEPKhlEEPlNSC_5SumOpIlEEllNS1_19lookback_scan_stateIlLb1ELb1EEEEEvT2_T3_mT5_T4_T7_jPT6_SS_bb
                                        ; -- End function
	.section	.AMDGPU.csdata,"",@progbits
; Kernel info:
; codeLenInByte = 4
; NumSgprs: 6
; NumVgprs: 0
; NumAgprs: 0
; TotalNumVgprs: 0
; ScratchSize: 0
; MemoryBound: 0
; FloatMode: 240
; IeeeMode: 1
; LDSByteSize: 0 bytes/workgroup (compile time only)
; SGPRBlocks: 0
; VGPRBlocks: 0
; NumSGPRsForWavesPerEU: 6
; NumVGPRsForWavesPerEU: 1
; AccumOffset: 4
; Occupancy: 8
; WaveLimiterHint : 0
; COMPUTE_PGM_RSRC2:SCRATCH_EN: 0
; COMPUTE_PGM_RSRC2:USER_SGPR: 2
; COMPUTE_PGM_RSRC2:TRAP_HANDLER: 0
; COMPUTE_PGM_RSRC2:TGID_X_EN: 1
; COMPUTE_PGM_RSRC2:TGID_Y_EN: 0
; COMPUTE_PGM_RSRC2:TGID_Z_EN: 0
; COMPUTE_PGM_RSRC2:TIDIG_COMP_CNT: 0
; COMPUTE_PGM_RSRC3_GFX90A:ACCUM_OFFSET: 0
; COMPUTE_PGM_RSRC3_GFX90A:TG_SPLIT: 0
	.section	.text._ZN7rocprim17ROCPRIM_304000_NS6detail20lookback_scan_kernelILNS1_25lookback_scan_determinismE0ELb1ENS1_19wrapped_scan_configINS0_14default_configElEEN6hipcub22TransformInputIteratorIbN2at4cuda3cub12_GLOBAL__N_111CountMaskOpEPKhlEEPlNSC_5SumOpIlEEllNS1_19lookback_scan_stateIlLb0ELb1EEEEEvT2_T3_mT5_T4_T7_jPT6_SS_bb,"axG",@progbits,_ZN7rocprim17ROCPRIM_304000_NS6detail20lookback_scan_kernelILNS1_25lookback_scan_determinismE0ELb1ENS1_19wrapped_scan_configINS0_14default_configElEEN6hipcub22TransformInputIteratorIbN2at4cuda3cub12_GLOBAL__N_111CountMaskOpEPKhlEEPlNSC_5SumOpIlEEllNS1_19lookback_scan_stateIlLb0ELb1EEEEEvT2_T3_mT5_T4_T7_jPT6_SS_bb,comdat
	.globl	_ZN7rocprim17ROCPRIM_304000_NS6detail20lookback_scan_kernelILNS1_25lookback_scan_determinismE0ELb1ENS1_19wrapped_scan_configINS0_14default_configElEEN6hipcub22TransformInputIteratorIbN2at4cuda3cub12_GLOBAL__N_111CountMaskOpEPKhlEEPlNSC_5SumOpIlEEllNS1_19lookback_scan_stateIlLb0ELb1EEEEEvT2_T3_mT5_T4_T7_jPT6_SS_bb ; -- Begin function _ZN7rocprim17ROCPRIM_304000_NS6detail20lookback_scan_kernelILNS1_25lookback_scan_determinismE0ELb1ENS1_19wrapped_scan_configINS0_14default_configElEEN6hipcub22TransformInputIteratorIbN2at4cuda3cub12_GLOBAL__N_111CountMaskOpEPKhlEEPlNSC_5SumOpIlEEllNS1_19lookback_scan_stateIlLb0ELb1EEEEEvT2_T3_mT5_T4_T7_jPT6_SS_bb
	.p2align	8
	.type	_ZN7rocprim17ROCPRIM_304000_NS6detail20lookback_scan_kernelILNS1_25lookback_scan_determinismE0ELb1ENS1_19wrapped_scan_configINS0_14default_configElEEN6hipcub22TransformInputIteratorIbN2at4cuda3cub12_GLOBAL__N_111CountMaskOpEPKhlEEPlNSC_5SumOpIlEEllNS1_19lookback_scan_stateIlLb0ELb1EEEEEvT2_T3_mT5_T4_T7_jPT6_SS_bb,@function
_ZN7rocprim17ROCPRIM_304000_NS6detail20lookback_scan_kernelILNS1_25lookback_scan_determinismE0ELb1ENS1_19wrapped_scan_configINS0_14default_configElEEN6hipcub22TransformInputIteratorIbN2at4cuda3cub12_GLOBAL__N_111CountMaskOpEPKhlEEPlNSC_5SumOpIlEEllNS1_19lookback_scan_stateIlLb0ELb1EEEEEvT2_T3_mT5_T4_T7_jPT6_SS_bb: ; @_ZN7rocprim17ROCPRIM_304000_NS6detail20lookback_scan_kernelILNS1_25lookback_scan_determinismE0ELb1ENS1_19wrapped_scan_configINS0_14default_configElEEN6hipcub22TransformInputIteratorIbN2at4cuda3cub12_GLOBAL__N_111CountMaskOpEPKhlEEPlNSC_5SumOpIlEEllNS1_19lookback_scan_stateIlLb0ELb1EEEEEvT2_T3_mT5_T4_T7_jPT6_SS_bb
; %bb.0:
	s_load_dword s3, s[0:1], 0x38
	s_load_dwordx2 s[22:23], s[0:1], 0x20
	s_load_dwordx2 s[20:21], s[0:1], 0x0
	s_load_dwordx4 s[16:19], s[0:1], 0x10
	s_mul_i32 s14, s2, 0xf00
	s_waitcnt lgkmcnt(0)
	s_add_i32 s3, s3, -1
	s_mul_i32 s4, s3, 0xf00
	s_mov_b32 s15, 0
	s_sub_u32 s28, s18, s4
	s_subb_u32 s29, s19, 0
	s_cmp_lg_u32 s2, s3
	s_cselect_b64 s[18:19], -1, 0
	s_add_u32 s6, s20, s14
	s_addc_u32 s7, s21, 0
	s_mov_b64 s[4:5], -1
	s_and_b64 vcc, exec, s[18:19]
	v_lshlrev_b32_e32 v62, 3, v0
	s_cbranch_vccz .LBB22_2
; %bb.1:
	global_load_ubyte v1, v0, s[6:7]
	global_load_ubyte v4, v0, s[6:7] offset:256
	global_load_ubyte v6, v0, s[6:7] offset:512
	;; [unrolled: 1-line block ×14, first 2 shown]
	v_mov_b32_e32 v3, s15
	v_mov_b32_e32 v5, s15
	;; [unrolled: 1-line block ×15, first 2 shown]
	s_mov_b64 s[4:5], 0
	s_waitcnt vmcnt(14)
	v_cmp_ne_u16_e32 vcc, 0, v1
	s_nop 1
	v_cndmask_b32_e64 v2, 0, 1, vcc
	s_waitcnt vmcnt(13)
	v_cmp_ne_u16_e32 vcc, 0, v4
	s_nop 1
	v_cndmask_b32_e64 v4, 0, 1, vcc
	;; [unrolled: 4-line block ×15, first 2 shown]
	ds_write2st64_b64 v62, v[2:3], v[4:5] offset1:4
	ds_write2st64_b64 v62, v[6:7], v[8:9] offset0:8 offset1:12
	ds_write2st64_b64 v62, v[10:11], v[12:13] offset0:16 offset1:20
	;; [unrolled: 1-line block ×6, first 2 shown]
	ds_write_b64 v62, v[30:31] offset:28672
	s_waitcnt lgkmcnt(0)
	s_barrier
.LBB22_2:
	s_andn2_b64 vcc, exec, s[4:5]
	v_cmp_gt_u32_e64 s[4:5], s28, v0
	s_cbranch_vccnz .LBB22_34
; %bb.3:
	v_mov_b32_e32 v5, 0
	global_load_ubyte v2, v5, s[6:7]
	s_mov_b32 s3, 0
	v_mov_b32_e32 v1, v5
	v_mov_b32_e32 v33, s3
	;; [unrolled: 1-line block ×15, first 2 shown]
	v_lshl_add_u64 v[60:61], s[6:7], 0, v[0:1]
	s_waitcnt vmcnt(0)
	v_cmp_ne_u16_e32 vcc, 0, v2
	s_nop 1
	v_cndmask_b32_e64 v32, 0, 1, vcc
	v_mov_b32_e32 v4, v32
	v_mov_b32_e32 v6, v32
	;; [unrolled: 1-line block ×14, first 2 shown]
	s_and_saveexec_b64 s[6:7], s[4:5]
	s_cbranch_execz .LBB22_5
; %bb.4:
	global_load_ubyte v1, v[60:61], off
	v_mov_b32_e32 v33, v5
	v_mov_b32_e32 v34, v32
	;; [unrolled: 1-line block ×27, first 2 shown]
	v_mov_b64_e32 v[2:3], v[30:31]
	v_mov_b32_e32 v65, s3
	v_mov_b64_e32 v[4:5], v[32:33]
	v_mov_b64_e32 v[6:7], v[34:35]
	;; [unrolled: 1-line block ×15, first 2 shown]
	s_waitcnt vmcnt(0)
	v_cmp_ne_u16_e32 vcc, 0, v1
	s_nop 1
	v_cndmask_b32_e64 v64, 0, 1, vcc
	v_mov_b64_e32 v[32:33], v[64:65]
.LBB22_5:
	s_or_b64 exec, exec, s[6:7]
	v_or_b32_e32 v1, 0x100, v0
	v_cmp_gt_u32_e32 vcc, s28, v1
	s_and_saveexec_b64 s[4:5], vcc
	s_cbranch_execz .LBB22_7
; %bb.6:
	global_load_ubyte v1, v[60:61], off offset:256
	v_mov_b32_e32 v5, 0
	s_waitcnt vmcnt(0)
	v_cmp_ne_u16_e32 vcc, 0, v1
	s_nop 1
	v_cndmask_b32_e64 v4, 0, 1, vcc
.LBB22_7:
	s_or_b64 exec, exec, s[4:5]
	v_or_b32_e32 v1, 0x200, v0
	v_cmp_gt_u32_e32 vcc, s28, v1
	s_and_saveexec_b64 s[4:5], vcc
	s_cbranch_execz .LBB22_9
; %bb.8:
	global_load_ubyte v1, v[60:61], off offset:512
	v_mov_b32_e32 v7, 0
	s_waitcnt vmcnt(0)
	v_cmp_ne_u16_e32 vcc, 0, v1
	s_nop 1
	v_cndmask_b32_e64 v6, 0, 1, vcc
.LBB22_9:
	;; [unrolled: 13-line block ×14, first 2 shown]
	s_or_b64 exec, exec, s[4:5]
	ds_write2st64_b64 v62, v[32:33], v[4:5] offset1:4
	ds_write2st64_b64 v62, v[6:7], v[8:9] offset0:8 offset1:12
	ds_write2st64_b64 v62, v[10:11], v[12:13] offset0:16 offset1:20
	;; [unrolled: 1-line block ×6, first 2 shown]
	ds_write_b64 v62, v[30:31] offset:28672
	s_waitcnt lgkmcnt(0)
	s_barrier
.LBB22_34:
	s_load_dwordx2 s[24:25], s[0:1], 0x30
	v_mul_u32_u24_e32 v68, 15, v0
	v_lshlrev_b32_e32 v1, 3, v68
	s_waitcnt lgkmcnt(0)
	ds_read2_b64 v[34:37], v1 offset1:1
	ds_read2_b64 v[38:41], v1 offset0:2 offset1:3
	ds_read2_b64 v[42:45], v1 offset0:4 offset1:5
	;; [unrolled: 1-line block ×6, first 2 shown]
	ds_read_b64 v[64:65], v1 offset:112
	s_waitcnt lgkmcnt(7)
	v_lshl_add_u64 v[2:3], v[36:37], 0, v[34:35]
	s_cmp_lg_u32 s2, 0
	s_waitcnt lgkmcnt(6)
	v_lshl_add_u64 v[66:67], v[2:3], 0, v[38:39]
	v_lshrrev_b32_e32 v1, 5, v0
	v_cmp_gt_u32_e32 vcc, 64, v0
	s_waitcnt lgkmcnt(0)
	s_barrier
	s_cbranch_scc0 .LBB22_59
; %bb.35:
	v_lshl_add_u64 v[2:3], v[66:67], 0, v[40:41]
	v_lshl_add_u64 v[2:3], v[2:3], 0, v[42:43]
	;; [unrolled: 1-line block ×12, first 2 shown]
	v_add_lshl_u32 v4, v1, v0, 3
	ds_write_b64 v4, v[2:3]
	s_waitcnt lgkmcnt(0)
	s_barrier
	s_and_saveexec_b64 s[6:7], vcc
	s_cbranch_execz .LBB22_37
; %bb.36:
	v_lshlrev_b32_e32 v4, 2, v0
	v_lshrrev_b32_e32 v5, 3, v0
	v_add_lshl_u32 v20, v5, v4, 3
	ds_read2_b64 v[4:7], v20 offset1:1
	ds_read2_b64 v[8:11], v20 offset0:2 offset1:3
	v_mbcnt_lo_u32_b32 v13, -1, 0
	v_mov_b32_e32 v12, 0
	v_mbcnt_hi_u32_b32 v21, -1, v13
	s_waitcnt lgkmcnt(1)
	v_lshl_add_u64 v[14:15], v[6:7], 0, v[4:5]
	s_waitcnt lgkmcnt(0)
	v_lshl_add_u64 v[14:15], v[14:15], 0, v[8:9]
	v_lshl_add_u64 v[14:15], v[14:15], 0, v[10:11]
	v_and_b32_e32 v22, 15, v21
	v_mov_b32_e32 v17, v12
	v_mov_b32_dpp v16, v14 row_shr:1 row_mask:0xf bank_mask:0xf
	v_mov_b32_dpp v13, v15 row_shr:1 row_mask:0xf bank_mask:0xf
	v_lshl_add_u64 v[16:17], v[14:15], 0, v[16:17]
	v_cmp_eq_u32_e64 s[4:5], 0, v22
	v_lshl_add_u64 v[18:19], v[12:13], 0, v[16:17]
	v_mov_b32_e32 v17, v12
	v_cndmask_b32_e64 v23, v16, v14, s[4:5]
	v_cndmask_b32_e64 v15, v19, v15, s[4:5]
	v_cndmask_b32_e64 v14, v18, v14, s[4:5]
	v_mov_b32_dpp v16, v23 row_shr:2 row_mask:0xf bank_mask:0xf
	v_mov_b32_dpp v13, v15 row_shr:2 row_mask:0xf bank_mask:0xf
	v_lshl_add_u64 v[16:17], v[14:15], 0, v[16:17]
	v_cmp_lt_u32_e64 s[4:5], 1, v22
	v_lshl_add_u64 v[18:19], v[16:17], 0, v[12:13]
	v_mov_b32_e32 v17, v12
	v_cndmask_b32_e64 v23, v23, v16, s[4:5]
	v_cndmask_b32_e64 v15, v15, v19, s[4:5]
	v_cndmask_b32_e64 v14, v14, v18, s[4:5]
	v_mov_b32_dpp v16, v23 row_shr:4 row_mask:0xf bank_mask:0xf
	v_mov_b32_dpp v13, v15 row_shr:4 row_mask:0xf bank_mask:0xf
	v_lshl_add_u64 v[16:17], v[14:15], 0, v[16:17]
	v_cmp_lt_u32_e64 s[4:5], 3, v22
	;; [unrolled: 9-line block ×3, first 2 shown]
	v_lshl_add_u64 v[18:19], v[16:17], 0, v[12:13]
	v_mov_b32_e32 v17, v12
	v_cndmask_b32_e64 v22, v23, v16, s[4:5]
	v_cndmask_b32_e64 v15, v15, v19, s[4:5]
	;; [unrolled: 1-line block ×3, first 2 shown]
	v_mov_b32_dpp v16, v22 row_bcast:15 row_mask:0xf bank_mask:0xf
	v_and_b32_e32 v23, 16, v21
	v_mov_b32_dpp v13, v15 row_bcast:15 row_mask:0xf bank_mask:0xf
	v_lshl_add_u64 v[16:17], v[14:15], 0, v[16:17]
	v_cmp_eq_u32_e64 s[4:5], 0, v23
	v_lshl_add_u64 v[18:19], v[16:17], 0, v[12:13]
	v_mov_b32_e32 v17, v12
	v_cndmask_b32_e64 v13, v16, v22, s[4:5]
	v_cndmask_b32_e64 v15, v19, v15, s[4:5]
	;; [unrolled: 1-line block ×3, first 2 shown]
	v_mov_b32_dpp v16, v13 row_bcast:31 row_mask:0xf bank_mask:0xf
	v_mov_b32_dpp v18, v15 row_bcast:31 row_mask:0xf bank_mask:0xf
	v_lshl_add_u64 v[16:17], v[14:15], 0, v[16:17]
	v_add_u32_e32 v14, v18, v17
	v_cmp_lt_u32_e64 s[4:5], 31, v21
	s_nop 1
	v_cndmask_b32_e64 v13, v13, v16, s[4:5]
	v_cndmask_b32_e64 v15, v15, v14, s[4:5]
	v_add_u32_e32 v14, -1, v21
	v_and_b32_e32 v16, 64, v21
	v_cmp_lt_i32_e64 s[4:5], v14, v16
	s_nop 1
	v_cndmask_b32_e64 v14, v14, v21, s[4:5]
	v_lshlrev_b32_e32 v16, 2, v14
	ds_bpermute_b32 v14, v16, v13
	ds_bpermute_b32 v13, v16, v15
	v_mov_b32_e32 v15, v12
	v_cmp_eq_u32_e64 s[4:5], 0, v0
	s_waitcnt lgkmcnt(1)
	v_lshl_add_u64 v[4:5], v[4:5], 0, v[14:15]
	s_waitcnt lgkmcnt(0)
	v_lshl_add_u64 v[4:5], v[4:5], 0, v[12:13]
	v_cndmask_b32_e64 v3, v5, v3, s[4:5]
	v_cndmask_b32_e64 v2, v4, v2, s[4:5]
	v_lshl_add_u64 v[4:5], v[2:3], 0, v[6:7]
	ds_write2_b64 v20, v[2:3], v[4:5] offset1:1
	v_lshl_add_u64 v[2:3], v[4:5], 0, v[8:9]
	v_lshl_add_u64 v[4:5], v[2:3], 0, v[10:11]
	ds_write2_b64 v20, v[2:3], v[4:5] offset0:2 offset1:3
.LBB22_37:
	s_or_b64 exec, exec, s[6:7]
	v_cmp_eq_u32_e64 s[6:7], 0, v0
	v_cmp_ne_u32_e64 s[4:5], 0, v0
	v_mov_b64_e32 v[10:11], 0
	s_waitcnt lgkmcnt(0)
	s_barrier
	s_and_saveexec_b64 s[8:9], s[4:5]
	s_cbranch_execz .LBB22_39
; %bb.38:
	v_add_u32_e32 v2, -1, v0
	v_lshrrev_b32_e32 v3, 5, v2
	v_add_lshl_u32 v2, v3, v2, 3
	ds_read_b64 v[10:11], v2
.LBB22_39:
	s_or_b64 exec, exec, s[8:9]
	s_and_saveexec_b64 s[26:27], vcc
	s_cbranch_execz .LBB22_58
; %bb.40:
	v_mov_b32_e32 v5, 0
	ds_read_b64 v[2:3], v5 offset:2096
	v_mbcnt_lo_u32_b32 v4, -1, 0
	v_mbcnt_hi_u32_b32 v16, -1, v4
	s_mov_b32 s11, 0
	v_cmp_eq_u32_e64 s[4:5], 0, v16
	s_and_saveexec_b64 s[8:9], s[4:5]
	s_cbranch_execz .LBB22_42
; %bb.41:
	s_add_i32 s10, s2, 64
	s_lshl_b64 s[10:11], s[10:11], 4
	s_add_u32 s10, s24, s10
	s_addc_u32 s11, s25, s11
	v_mov_b32_e32 v4, 1
	v_mov_b64_e32 v[6:7], s[10:11]
	s_waitcnt lgkmcnt(0)
	;;#ASMSTART
	global_store_dwordx4 v[6:7], v[2:5] off sc1	
s_waitcnt vmcnt(0)
	;;#ASMEND
.LBB22_42:
	s_or_b64 exec, exec, s[8:9]
	v_xad_u32 v12, v16, -1, s2
	v_add_u32_e32 v4, 64, v12
	v_lshl_add_u64 v[14:15], v[4:5], 4, s[24:25]
	;;#ASMSTART
	global_load_dwordx4 v[6:9], v[14:15] off sc1	
s_waitcnt vmcnt(0)
	;;#ASMEND
	s_nop 0
	v_cmp_eq_u16_sdwa s[10:11], v8, v5 src0_sel:BYTE_0 src1_sel:DWORD
	s_and_saveexec_b64 s[8:9], s[10:11]
	s_cbranch_execz .LBB22_46
; %bb.43:
	s_mov_b64 s[10:11], 0
	v_mov_b32_e32 v4, 0
.LBB22_44:                              ; =>This Inner Loop Header: Depth=1
	;;#ASMSTART
	global_load_dwordx4 v[6:9], v[14:15] off sc1	
s_waitcnt vmcnt(0)
	;;#ASMEND
	s_nop 0
	v_cmp_ne_u16_sdwa s[12:13], v8, v4 src0_sel:BYTE_0 src1_sel:DWORD
	s_or_b64 s[10:11], s[12:13], s[10:11]
	s_andn2_b64 exec, exec, s[10:11]
	s_cbranch_execnz .LBB22_44
; %bb.45:
	s_or_b64 exec, exec, s[10:11]
.LBB22_46:
	s_or_b64 exec, exec, s[8:9]
	v_and_b32_e32 v17, 63, v16
	v_mov_b32_e32 v18, 2
	v_cmp_ne_u32_e32 vcc, 63, v17
	v_cmp_eq_u16_sdwa s[8:9], v8, v18 src0_sel:BYTE_0 src1_sel:DWORD
	v_lshlrev_b64 v[4:5], v16, -1
	v_addc_co_u32_e32 v14, vcc, 0, v16, vcc
	v_and_b32_e32 v9, s9, v5
	v_lshlrev_b32_e32 v19, 2, v14
	v_or_b32_e32 v9, 0x80000000, v9
	ds_bpermute_b32 v14, v19, v6
	v_and_b32_e32 v13, s8, v4
	v_ffbl_b32_e32 v9, v9
	ds_bpermute_b32 v23, v19, v7
	v_add_u32_e32 v9, 32, v9
	v_ffbl_b32_e32 v13, v13
	v_min_u32_e32 v9, v13, v9
	v_mov_b32_e32 v13, 0
	v_add_u32_e32 v20, 1, v16
	v_mov_b32_e32 v15, v13
	v_mov_b32_e32 v22, v13
	s_waitcnt lgkmcnt(1)
	v_lshl_add_u64 v[14:15], v[6:7], 0, v[14:15]
	v_cmp_le_u32_e32 vcc, v20, v9
	v_cmp_gt_u32_e64 s[8:9], 62, v17
	s_waitcnt lgkmcnt(0)
	v_lshl_add_u64 v[22:23], v[22:23], 0, v[14:15]
	v_cndmask_b32_e32 v26, v6, v14, vcc
	v_cndmask_b32_e64 v14, 0, 1, s[8:9]
	v_lshlrev_b32_e32 v14, 1, v14
	v_cndmask_b32_e32 v15, v7, v23, vcc
	v_add_lshl_u32 v21, v14, v16, 2
	ds_bpermute_b32 v24, v21, v26
	ds_bpermute_b32 v25, v21, v15
	v_cmp_gt_u32_e64 s[10:11], 60, v17
	v_cndmask_b32_e32 v14, v6, v22, vcc
	v_add_u32_e32 v22, 2, v16
	v_cndmask_b32_e64 v23, 0, 1, s[10:11]
	s_waitcnt lgkmcnt(0)
	v_lshl_add_u64 v[24:25], v[24:25], 0, v[14:15]
	v_cmp_le_u32_e64 s[8:9], v22, v9
	v_lshlrev_b32_e32 v23, 2, v23
	v_add_lshl_u32 v23, v23, v16, 2
	v_cndmask_b32_e64 v28, v26, v24, s[8:9]
	v_cndmask_b32_e64 v15, v15, v25, s[8:9]
	ds_bpermute_b32 v26, v23, v28
	ds_bpermute_b32 v27, v23, v15
	v_cmp_gt_u32_e64 s[12:13], 56, v17
	v_cndmask_b32_e64 v14, v14, v24, s[8:9]
	v_add_u32_e32 v24, 4, v16
	v_cndmask_b32_e64 v25, 0, 1, s[12:13]
	s_waitcnt lgkmcnt(0)
	v_lshl_add_u64 v[26:27], v[26:27], 0, v[14:15]
	v_cmp_le_u32_e64 s[10:11], v24, v9
	v_lshlrev_b32_e32 v25, 3, v25
	v_add_lshl_u32 v25, v25, v16, 2
	v_cndmask_b32_e64 v30, v28, v26, s[10:11]
	v_cndmask_b32_e64 v15, v15, v27, s[10:11]
	ds_bpermute_b32 v28, v25, v30
	ds_bpermute_b32 v29, v25, v15
	s_or_b64 s[12:13], vcc, s[8:9]
	v_cmp_gt_u32_e64 s[8:9], 48, v17
	v_cndmask_b32_e64 v14, v14, v26, s[10:11]
	v_add_u32_e32 v26, 8, v16
	v_cndmask_b32_e64 v27, 0, 1, s[8:9]
	s_waitcnt lgkmcnt(0)
	v_lshl_add_u64 v[28:29], v[28:29], 0, v[14:15]
	v_cmp_le_u32_e32 vcc, v26, v9
	v_lshlrev_b32_e32 v27, 4, v27
	v_add_lshl_u32 v27, v27, v16, 2
	v_cndmask_b32_e32 v63, v30, v28, vcc
	v_cndmask_b32_e32 v15, v15, v29, vcc
	ds_bpermute_b32 v30, v27, v63
	ds_bpermute_b32 v31, v27, v15
	s_or_b64 s[8:9], s[10:11], s[12:13]
	v_cndmask_b32_e32 v14, v14, v28, vcc
	v_add_u32_e32 v28, 16, v16
	s_or_b64 s[8:9], vcc, s[8:9]
	v_cmp_le_u32_e32 vcc, v28, v9
	s_or_b64 s[10:11], vcc, s[8:9]
	v_cmp_gt_u32_e64 s[8:9], 32, v17
	s_waitcnt lgkmcnt(0)
	v_lshl_add_u64 v[32:33], v[30:31], 0, v[14:15]
	v_cndmask_b32_e32 v30, v63, v32, vcc
	v_cndmask_b32_e64 v17, 0, 1, s[8:9]
	v_lshlrev_b32_e32 v17, 5, v17
	v_add_lshl_u32 v29, v17, v16, 2
	v_cndmask_b32_e32 v15, v15, v33, vcc
	ds_bpermute_b32 v17, v29, v15
	ds_bpermute_b32 v31, v29, v30
	v_add_u32_e32 v30, 32, v16
	v_cndmask_b32_e32 v14, v14, v32, vcc
	v_cmp_le_u32_e32 vcc, v30, v9
	s_waitcnt lgkmcnt(1)
	s_nop 0
	v_cndmask_b32_e32 v17, 0, v17, vcc
	s_waitcnt lgkmcnt(0)
	v_cndmask_b32_e32 v16, 0, v31, vcc
	v_lshl_add_u64 v[14:15], v[16:17], 0, v[14:15]
	s_or_b64 vcc, vcc, s[10:11]
	v_cndmask_b32_e32 v7, v7, v15, vcc
	v_cndmask_b32_e32 v6, v6, v14, vcc
	s_branch .LBB22_48
.LBB22_47:                              ;   in Loop: Header=BB22_48 Depth=1
	s_or_b64 exec, exec, s[8:9]
	v_cmp_eq_u16_sdwa s[8:9], v8, v18 src0_sel:BYTE_0 src1_sel:DWORD
	v_subrev_u32_e32 v9, 64, v12
	ds_bpermute_b32 v17, v19, v7
	v_and_b32_e32 v12, s9, v5
	v_or_b32_e32 v12, 0x80000000, v12
	v_ffbl_b32_e32 v12, v12
	v_add_u32_e32 v31, 32, v12
	ds_bpermute_b32 v12, v19, v6
	v_and_b32_e32 v16, s8, v4
	v_ffbl_b32_e32 v16, v16
	v_min_u32_e32 v31, v16, v31
	v_mov_b32_e32 v16, v13
	s_waitcnt lgkmcnt(0)
	v_lshl_add_u64 v[32:33], v[6:7], 0, v[12:13]
	v_lshl_add_u64 v[16:17], v[16:17], 0, v[32:33]
	v_cmp_le_u32_e32 vcc, v20, v31
	v_cmp_le_u32_e64 s[8:9], v22, v31
	v_cmp_le_u32_e64 s[10:11], v24, v31
	v_cndmask_b32_e32 v12, v6, v32, vcc
	v_cndmask_b32_e32 v17, v7, v17, vcc
	ds_bpermute_b32 v32, v21, v12
	ds_bpermute_b32 v33, v21, v17
	v_cndmask_b32_e32 v16, v6, v16, vcc
	v_cmp_le_u32_e64 s[12:13], v26, v31
	s_waitcnt lgkmcnt(0)
	v_lshl_add_u64 v[32:33], v[32:33], 0, v[16:17]
	v_cndmask_b32_e64 v12, v12, v32, s[8:9]
	v_cndmask_b32_e64 v17, v17, v33, s[8:9]
	ds_bpermute_b32 v70, v23, v12
	ds_bpermute_b32 v71, v23, v17
	v_cndmask_b32_e64 v16, v16, v32, s[8:9]
	s_or_b64 s[8:9], vcc, s[8:9]
	v_cmp_le_u32_e32 vcc, v28, v31
	s_or_b64 s[8:9], s[10:11], s[8:9]
	s_waitcnt lgkmcnt(0)
	v_lshl_add_u64 v[32:33], v[70:71], 0, v[16:17]
	v_cndmask_b32_e64 v12, v12, v32, s[10:11]
	v_cndmask_b32_e64 v17, v17, v33, s[10:11]
	ds_bpermute_b32 v70, v25, v12
	ds_bpermute_b32 v71, v25, v17
	v_cndmask_b32_e64 v16, v16, v32, s[10:11]
	s_or_b64 s[8:9], s[12:13], s[8:9]
	s_or_b64 s[8:9], vcc, s[8:9]
	s_waitcnt lgkmcnt(0)
	v_lshl_add_u64 v[32:33], v[70:71], 0, v[16:17]
	v_cndmask_b32_e64 v12, v12, v32, s[12:13]
	v_cndmask_b32_e64 v17, v17, v33, s[12:13]
	ds_bpermute_b32 v70, v27, v12
	ds_bpermute_b32 v71, v27, v17
	v_cndmask_b32_e64 v16, v16, v32, s[12:13]
	s_waitcnt lgkmcnt(0)
	v_lshl_add_u64 v[32:33], v[70:71], 0, v[16:17]
	v_cndmask_b32_e32 v12, v12, v32, vcc
	v_cndmask_b32_e32 v17, v17, v33, vcc
	ds_bpermute_b32 v33, v29, v17
	ds_bpermute_b32 v12, v29, v12
	v_cndmask_b32_e32 v16, v16, v32, vcc
	v_cmp_le_u32_e32 vcc, v30, v31
	s_waitcnt lgkmcnt(1)
	s_nop 0
	v_cndmask_b32_e32 v33, 0, v33, vcc
	s_waitcnt lgkmcnt(0)
	v_cndmask_b32_e32 v32, 0, v12, vcc
	v_lshl_add_u64 v[16:17], v[32:33], 0, v[16:17]
	s_or_b64 vcc, vcc, s[8:9]
	v_cndmask_b32_e32 v7, v7, v17, vcc
	v_cndmask_b32_e32 v6, v6, v16, vcc
	v_lshl_add_u64 v[6:7], v[6:7], 0, v[14:15]
	v_mov_b32_e32 v12, v9
.LBB22_48:                              ; =>This Loop Header: Depth=1
                                        ;     Child Loop BB22_51 Depth 2
	v_cmp_ne_u16_sdwa s[8:9], v8, v18 src0_sel:BYTE_0 src1_sel:DWORD
	v_mov_b64_e32 v[14:15], v[6:7]
	s_nop 0
	v_cndmask_b32_e64 v8, 0, 1, s[8:9]
	;;#ASMSTART
	;;#ASMEND
	s_nop 0
	v_cmp_ne_u32_e32 vcc, 0, v8
	s_cmp_lg_u64 vcc, exec
	s_cbranch_scc1 .LBB22_53
; %bb.49:                               ;   in Loop: Header=BB22_48 Depth=1
	v_lshl_add_u64 v[16:17], v[12:13], 4, s[24:25]
	;;#ASMSTART
	global_load_dwordx4 v[6:9], v[16:17] off sc1	
s_waitcnt vmcnt(0)
	;;#ASMEND
	s_nop 0
	v_cmp_eq_u16_sdwa s[10:11], v8, v13 src0_sel:BYTE_0 src1_sel:DWORD
	s_and_saveexec_b64 s[8:9], s[10:11]
	s_cbranch_execz .LBB22_47
; %bb.50:                               ;   in Loop: Header=BB22_48 Depth=1
	s_mov_b64 s[10:11], 0
.LBB22_51:                              ;   Parent Loop BB22_48 Depth=1
                                        ; =>  This Inner Loop Header: Depth=2
	;;#ASMSTART
	global_load_dwordx4 v[6:9], v[16:17] off sc1	
s_waitcnt vmcnt(0)
	;;#ASMEND
	s_nop 0
	v_cmp_ne_u16_sdwa s[12:13], v8, v13 src0_sel:BYTE_0 src1_sel:DWORD
	s_or_b64 s[10:11], s[12:13], s[10:11]
	s_andn2_b64 exec, exec, s[10:11]
	s_cbranch_execnz .LBB22_51
; %bb.52:                               ;   in Loop: Header=BB22_48 Depth=1
	s_or_b64 exec, exec, s[10:11]
	s_branch .LBB22_47
.LBB22_53:                              ;   in Loop: Header=BB22_48 Depth=1
                                        ; implicit-def: $vgpr6_vgpr7
                                        ; implicit-def: $vgpr8
	s_cbranch_execz .LBB22_48
; %bb.54:
	s_and_saveexec_b64 s[8:9], s[4:5]
	s_cbranch_execz .LBB22_56
; %bb.55:
	s_add_i32 s2, s2, 64
	s_mov_b32 s3, 0
	s_lshl_b64 s[2:3], s[2:3], 4
	s_add_u32 s2, s24, s2
	s_addc_u32 s3, s25, s3
	v_lshl_add_u64 v[2:3], v[14:15], 0, v[2:3]
	v_mov_b32_e32 v4, 2
	v_mov_b32_e32 v5, 0
	v_mov_b64_e32 v[6:7], s[2:3]
	;;#ASMSTART
	global_store_dwordx4 v[6:7], v[2:5] off sc1	
s_waitcnt vmcnt(0)
	;;#ASMEND
.LBB22_56:
	s_or_b64 exec, exec, s[8:9]
	s_and_b64 exec, exec, s[6:7]
	s_cbranch_execz .LBB22_58
; %bb.57:
	v_mov_b32_e32 v2, 0
	ds_write_b64 v2, v[14:15]
.LBB22_58:
	s_or_b64 exec, exec, s[26:27]
	v_mov_b32_e32 v2, 0
	s_waitcnt lgkmcnt(0)
	s_barrier
	ds_read_b64 v[2:3], v2
	s_waitcnt lgkmcnt(0)
	v_lshl_add_u64 v[2:3], v[2:3], 0, v[10:11]
	v_lshl_add_u64 v[4:5], v[2:3], 0, v[34:35]
	;; [unrolled: 1-line block ×15, first 2 shown]
	s_load_dwordx4 s[4:7], s[0:1], 0x40
	s_branch .LBB22_69
.LBB22_59:
                                        ; implicit-def: $vgpr2_vgpr3_vgpr4_vgpr5_vgpr6_vgpr7_vgpr8_vgpr9_vgpr10_vgpr11_vgpr12_vgpr13_vgpr14_vgpr15_vgpr16_vgpr17_vgpr18_vgpr19_vgpr20_vgpr21_vgpr22_vgpr23_vgpr24_vgpr25_vgpr26_vgpr27_vgpr28_vgpr29_vgpr30_vgpr31_vgpr32_vgpr33
	s_load_dwordx4 s[4:7], s[0:1], 0x40
	s_cbranch_execz .LBB22_69
; %bb.60:
	s_load_dword s2, s[0:1], 0x50
	v_mov_b64_e32 v[32:33], s[22:23]
	s_waitcnt lgkmcnt(0)
	s_bitcmp0_b32 s2, 0
	s_mov_b32 s2, 0
	s_cbranch_scc1 .LBB22_62
; %bb.61:
	v_mov_b32_e32 v2, 0
	global_load_ubyte v2, v2, s[20:21] offset:-1
	s_load_dwordx2 s[4:5], s[4:5], 0x0
	v_mov_b32_e32 v3, s2
	s_waitcnt vmcnt(0)
	v_cmp_ne_u16_e32 vcc, 0, v2
	s_nop 1
	v_cndmask_b32_e64 v2, 0, 1, vcc
	s_waitcnt lgkmcnt(0)
	v_lshl_add_u64 v[32:33], s[4:5], 0, v[2:3]
.LBB22_62:
	v_lshl_add_u64 v[2:3], v[66:67], 0, v[40:41]
	v_lshl_add_u64 v[2:3], v[2:3], 0, v[42:43]
	;; [unrolled: 1-line block ×12, first 2 shown]
	v_add_lshl_u32 v1, v1, v0, 3
	v_cmp_gt_u32_e32 vcc, 64, v0
	ds_write_b64 v1, v[2:3]
	s_waitcnt lgkmcnt(0)
	s_barrier
	s_and_saveexec_b64 s[2:3], vcc
	s_cbranch_execz .LBB22_64
; %bb.63:
	v_lshlrev_b32_e32 v1, 2, v0
	v_lshrrev_b32_e32 v4, 3, v0
	v_add_lshl_u32 v1, v4, v1, 3
	ds_read2_b64 v[4:7], v1 offset1:1
	ds_read2_b64 v[8:11], v1 offset0:2 offset1:3
	v_mbcnt_lo_u32_b32 v13, -1, 0
	v_mov_b32_e32 v12, 0
	v_mbcnt_hi_u32_b32 v20, -1, v13
	s_waitcnt lgkmcnt(1)
	v_lshl_add_u64 v[14:15], v[6:7], 0, v[4:5]
	s_waitcnt lgkmcnt(0)
	v_lshl_add_u64 v[14:15], v[14:15], 0, v[8:9]
	v_lshl_add_u64 v[14:15], v[14:15], 0, v[10:11]
	v_and_b32_e32 v21, 15, v20
	v_mov_b32_e32 v17, v12
	v_mov_b32_dpp v16, v14 row_shr:1 row_mask:0xf bank_mask:0xf
	v_mov_b32_dpp v13, v15 row_shr:1 row_mask:0xf bank_mask:0xf
	v_lshl_add_u64 v[16:17], v[14:15], 0, v[16:17]
	v_cmp_eq_u32_e32 vcc, 0, v21
	v_lshl_add_u64 v[18:19], v[12:13], 0, v[16:17]
	v_mov_b32_e32 v17, v12
	v_cndmask_b32_e32 v22, v16, v14, vcc
	v_cndmask_b32_e32 v15, v19, v15, vcc
	v_cndmask_b32_e32 v14, v18, v14, vcc
	v_mov_b32_dpp v16, v22 row_shr:2 row_mask:0xf bank_mask:0xf
	v_mov_b32_dpp v13, v15 row_shr:2 row_mask:0xf bank_mask:0xf
	v_lshl_add_u64 v[16:17], v[14:15], 0, v[16:17]
	v_cmp_lt_u32_e32 vcc, 1, v21
	v_lshl_add_u64 v[18:19], v[16:17], 0, v[12:13]
	v_mov_b32_e32 v17, v12
	v_cndmask_b32_e32 v22, v22, v16, vcc
	v_cndmask_b32_e32 v15, v15, v19, vcc
	v_cndmask_b32_e32 v14, v14, v18, vcc
	v_mov_b32_dpp v16, v22 row_shr:4 row_mask:0xf bank_mask:0xf
	v_mov_b32_dpp v13, v15 row_shr:4 row_mask:0xf bank_mask:0xf
	v_lshl_add_u64 v[16:17], v[14:15], 0, v[16:17]
	v_cmp_lt_u32_e32 vcc, 3, v21
	;; [unrolled: 9-line block ×3, first 2 shown]
	v_lshl_add_u64 v[18:19], v[16:17], 0, v[12:13]
	v_mov_b32_e32 v17, v12
	v_cndmask_b32_e32 v21, v22, v16, vcc
	v_cndmask_b32_e32 v15, v15, v19, vcc
	;; [unrolled: 1-line block ×3, first 2 shown]
	v_mov_b32_dpp v16, v21 row_bcast:15 row_mask:0xf bank_mask:0xf
	v_and_b32_e32 v22, 16, v20
	v_mov_b32_dpp v13, v15 row_bcast:15 row_mask:0xf bank_mask:0xf
	v_lshl_add_u64 v[16:17], v[14:15], 0, v[16:17]
	v_cmp_eq_u32_e32 vcc, 0, v22
	v_lshl_add_u64 v[18:19], v[16:17], 0, v[12:13]
	v_mov_b32_e32 v17, v12
	v_cndmask_b32_e32 v13, v16, v21, vcc
	v_cndmask_b32_e32 v15, v19, v15, vcc
	;; [unrolled: 1-line block ×3, first 2 shown]
	v_mov_b32_dpp v16, v13 row_bcast:31 row_mask:0xf bank_mask:0xf
	v_mov_b32_dpp v18, v15 row_bcast:31 row_mask:0xf bank_mask:0xf
	v_lshl_add_u64 v[16:17], v[14:15], 0, v[16:17]
	v_add_u32_e32 v14, v18, v17
	v_cmp_lt_u32_e32 vcc, 31, v20
	s_nop 1
	v_cndmask_b32_e32 v13, v13, v16, vcc
	v_cndmask_b32_e32 v15, v15, v14, vcc
	v_add_u32_e32 v14, -1, v20
	v_and_b32_e32 v16, 64, v20
	v_cmp_lt_i32_e32 vcc, v14, v16
	s_nop 1
	v_cndmask_b32_e32 v14, v14, v20, vcc
	v_lshlrev_b32_e32 v16, 2, v14
	ds_bpermute_b32 v14, v16, v13
	ds_bpermute_b32 v13, v16, v15
	v_mov_b32_e32 v15, v12
	v_cmp_eq_u32_e32 vcc, 0, v0
	s_waitcnt lgkmcnt(1)
	v_lshl_add_u64 v[4:5], v[4:5], 0, v[14:15]
	s_waitcnt lgkmcnt(0)
	v_lshl_add_u64 v[4:5], v[4:5], 0, v[12:13]
	v_cndmask_b32_e32 v3, v5, v3, vcc
	v_cndmask_b32_e32 v2, v4, v2, vcc
	v_lshl_add_u64 v[4:5], v[2:3], 0, v[6:7]
	ds_write2_b64 v1, v[2:3], v[4:5] offset1:1
	v_lshl_add_u64 v[2:3], v[4:5], 0, v[8:9]
	v_lshl_add_u64 v[4:5], v[2:3], 0, v[10:11]
	ds_write2_b64 v1, v[2:3], v[4:5] offset0:2 offset1:3
.LBB22_64:
	s_or_b64 exec, exec, s[2:3]
	v_cmp_eq_u32_e32 vcc, 0, v0
	v_cmp_ne_u32_e64 s[2:3], 0, v0
	v_mov_b64_e32 v[2:3], v[32:33]
	s_waitcnt lgkmcnt(0)
	s_barrier
	s_and_saveexec_b64 s[4:5], s[2:3]
	s_cbranch_execz .LBB22_66
; %bb.65:
	v_add_u32_e32 v1, -1, v0
	v_lshrrev_b32_e32 v2, 5, v1
	v_add_lshl_u32 v1, v2, v1, 3
	ds_read_b64 v[2:3], v1
	s_waitcnt lgkmcnt(0)
	v_lshl_add_u64 v[2:3], v[2:3], 0, v[32:33]
.LBB22_66:
	s_or_b64 exec, exec, s[4:5]
	v_lshl_add_u64 v[4:5], v[2:3], 0, v[34:35]
	v_lshl_add_u64 v[6:7], v[4:5], 0, v[36:37]
	;; [unrolled: 1-line block ×14, first 2 shown]
	s_and_saveexec_b64 s[2:3], vcc
	s_cbranch_execz .LBB22_68
; %bb.67:
	v_mov_b32_e32 v35, 0
	ds_read_b64 v[36:37], v35 offset:2096
	s_add_u32 s4, s24, 0x400
	s_addc_u32 s5, s25, 0
	v_mov_b32_e32 v34, 2
	s_waitcnt lgkmcnt(0)
	v_lshl_add_u64 v[32:33], v[36:37], 0, v[32:33]
	v_mov_b64_e32 v[36:37], s[4:5]
	;;#ASMSTART
	global_store_dwordx4 v[36:37], v[32:35] off sc1	
s_waitcnt vmcnt(0)
	;;#ASMEND
.LBB22_68:
	s_or_b64 exec, exec, s[2:3]
.LBB22_69:
	s_lshl_b64 s[2:3], s[14:15], 3
	s_add_u32 s2, s16, s2
	s_addc_u32 s3, s17, s3
	s_waitcnt lgkmcnt(0)
	s_mov_b64 s[4:5], -1
	s_and_b64 vcc, exec, s[18:19]
	s_barrier
	s_cbranch_vccz .LBB22_71
; %bb.70:
	v_mul_u32_u24_e32 v1, 0x78, v0
	s_movk_i32 s4, 0x78
	ds_write2_b64 v1, v[2:3], v[4:5] offset1:1
	ds_write2_b64 v1, v[6:7], v[8:9] offset0:2 offset1:3
	ds_write2_b64 v1, v[10:11], v[12:13] offset0:4 offset1:5
	;; [unrolled: 1-line block ×6, first 2 shown]
	ds_write_b64 v1, v[30:31] offset:112
	v_mul_i32_i24_e32 v1, 0xffffff90, v0
	v_mad_u32_u24 v1, v0, s4, v1
	v_mov_b32_e32 v63, 0
	s_waitcnt lgkmcnt(0)
	s_barrier
	ds_read2st64_b64 v[32:35], v1 offset1:4
	ds_read2st64_b64 v[36:39], v1 offset0:8 offset1:12
	ds_read2st64_b64 v[40:43], v1 offset0:16 offset1:20
	;; [unrolled: 1-line block ×6, first 2 shown]
	ds_read_b64 v[60:61], v1 offset:28672
	v_lshl_add_u64 v[64:65], s[2:3], 0, v[62:63]
	s_movk_i32 s4, 0x1000
	s_waitcnt lgkmcnt(7)
	global_store_dwordx2 v62, v[32:33], s[2:3]
	global_store_dwordx2 v62, v[34:35], s[2:3] offset:2048
	v_add_co_u32_e32 v32, vcc, s4, v64
	s_movk_i32 s4, 0x2000
	s_nop 0
	v_addc_co_u32_e32 v33, vcc, 0, v65, vcc
	v_add_co_u32_e32 v34, vcc, s4, v64
	s_movk_i32 s4, 0x3000
	s_nop 0
	v_addc_co_u32_e32 v35, vcc, 0, v65, vcc
	s_waitcnt lgkmcnt(6)
	global_store_dwordx2 v[34:35], v[36:37], off offset:-4096
	global_store_dwordx2 v[32:33], v[38:39], off offset:2048
	s_waitcnt lgkmcnt(5)
	global_store_dwordx2 v[34:35], v[40:41], off
	global_store_dwordx2 v[34:35], v[42:43], off offset:2048
	v_add_co_u32_e32 v32, vcc, s4, v64
	s_movk_i32 s4, 0x4000
	s_nop 0
	v_addc_co_u32_e32 v33, vcc, 0, v65, vcc
	v_add_co_u32_e32 v34, vcc, s4, v64
	s_movk_i32 s4, 0x5000
	s_nop 0
	v_addc_co_u32_e32 v35, vcc, 0, v65, vcc
	s_waitcnt lgkmcnt(4)
	global_store_dwordx2 v[34:35], v[44:45], off offset:-4096
	global_store_dwordx2 v[32:33], v[46:47], off offset:2048
	s_waitcnt lgkmcnt(3)
	global_store_dwordx2 v[34:35], v[48:49], off
	global_store_dwordx2 v[34:35], v[50:51], off offset:2048
	v_add_co_u32_e32 v32, vcc, s4, v64
	s_mov_b64 s[4:5], 0
	s_nop 0
	v_addc_co_u32_e32 v33, vcc, 0, v65, vcc
	s_waitcnt lgkmcnt(2)
	global_store_dwordx2 v[32:33], v[52:53], off
	global_store_dwordx2 v[32:33], v[54:55], off offset:2048
	v_add_co_u32_e32 v32, vcc, 0x6000, v64
	s_nop 1
	v_addc_co_u32_e32 v33, vcc, 0, v65, vcc
	s_waitcnt lgkmcnt(1)
	global_store_dwordx2 v[32:33], v[56:57], off
	global_store_dwordx2 v[32:33], v[58:59], off offset:2048
	v_add_co_u32_e32 v32, vcc, 0x7000, v64
	s_nop 1
	v_addc_co_u32_e32 v33, vcc, 0, v65, vcc
	s_waitcnt lgkmcnt(0)
	global_store_dwordx2 v[32:33], v[60:61], off
.LBB22_71:
	s_andn2_b64 vcc, exec, s[4:5]
	s_cbranch_vccnz .LBB22_157
; %bb.72:
	v_mul_u32_u24_e32 v1, 0x78, v0
	s_movk_i32 s4, 0x78
	ds_write2_b64 v1, v[2:3], v[4:5] offset1:1
	ds_write2_b64 v1, v[6:7], v[8:9] offset0:2 offset1:3
	ds_write2_b64 v1, v[10:11], v[12:13] offset0:4 offset1:5
	;; [unrolled: 1-line block ×6, first 2 shown]
	ds_write_b64 v1, v[30:31] offset:112
	v_mul_i32_i24_e32 v1, 0xffffff90, v0
	v_mad_u32_u24 v1, v0, s4, v1
	s_waitcnt lgkmcnt(0)
	s_barrier
	ds_read2st64_b64 v[6:9], v1 offset1:4
	ds_read2st64_b64 v[14:17], v1 offset0:8 offset1:12
	ds_read2st64_b64 v[10:13], v1 offset0:16 offset1:20
	;; [unrolled: 1-line block ×6, first 2 shown]
	ds_read_b64 v[30:31], v1 offset:28672
	v_mov_b32_e32 v63, 0
	v_lshl_add_u64 v[32:33], s[2:3], 0, v[62:63]
	v_cmp_gt_u32_e32 vcc, s28, v0
	s_and_saveexec_b64 s[2:3], vcc
	s_cbranch_execz .LBB22_74
; %bb.73:
	s_waitcnt lgkmcnt(7)
	global_store_dwordx2 v[32:33], v[6:7], off
.LBB22_74:
	s_or_b64 exec, exec, s[2:3]
	v_or_b32_e32 v1, 0x100, v0
	v_cmp_gt_u32_e32 vcc, s28, v1
	s_and_saveexec_b64 s[2:3], vcc
	s_cbranch_execz .LBB22_76
; %bb.75:
	s_waitcnt lgkmcnt(7)
	global_store_dwordx2 v[32:33], v[8:9], off offset:2048
.LBB22_76:
	s_or_b64 exec, exec, s[2:3]
	v_or_b32_e32 v1, 0x200, v0
	v_cmp_gt_u32_e32 vcc, s28, v1
	s_and_saveexec_b64 s[2:3], vcc
	s_cbranch_execz .LBB22_78
; %bb.77:
	v_add_co_u32_e32 v34, vcc, 0x1000, v32
	s_nop 1
	v_addc_co_u32_e32 v35, vcc, 0, v33, vcc
	s_waitcnt lgkmcnt(6)
	global_store_dwordx2 v[34:35], v[14:15], off
.LBB22_78:
	s_or_b64 exec, exec, s[2:3]
	v_or_b32_e32 v1, 0x300, v0
	v_cmp_gt_u32_e32 vcc, s28, v1
	s_and_saveexec_b64 s[2:3], vcc
	s_cbranch_execz .LBB22_80
; %bb.79:
	v_add_co_u32_e32 v34, vcc, 0x1000, v32
	s_nop 1
	v_addc_co_u32_e32 v35, vcc, 0, v33, vcc
	s_waitcnt lgkmcnt(6)
	global_store_dwordx2 v[34:35], v[16:17], off offset:2048
.LBB22_80:
	s_or_b64 exec, exec, s[2:3]
	v_or_b32_e32 v1, 0x400, v0
	v_cmp_gt_u32_e32 vcc, s28, v1
	s_and_saveexec_b64 s[2:3], vcc
	s_cbranch_execz .LBB22_82
; %bb.81:
	v_add_co_u32_e32 v34, vcc, 0x2000, v32
	s_nop 1
	v_addc_co_u32_e32 v35, vcc, 0, v33, vcc
	s_waitcnt lgkmcnt(5)
	global_store_dwordx2 v[34:35], v[10:11], off
.LBB22_82:
	s_or_b64 exec, exec, s[2:3]
	v_or_b32_e32 v1, 0x500, v0
	v_cmp_gt_u32_e32 vcc, s28, v1
	s_and_saveexec_b64 s[2:3], vcc
	s_cbranch_execz .LBB22_84
; %bb.83:
	v_add_co_u32_e32 v34, vcc, 0x2000, v32
	s_nop 1
	v_addc_co_u32_e32 v35, vcc, 0, v33, vcc
	s_waitcnt lgkmcnt(5)
	global_store_dwordx2 v[34:35], v[12:13], off offset:2048
.LBB22_84:
	;; [unrolled: 24-line block ×6, first 2 shown]
	s_or_b64 exec, exec, s[2:3]
	v_or_b32_e32 v1, 0xe00, v0
	v_cmp_gt_u32_e32 vcc, s28, v1
	s_and_saveexec_b64 s[2:3], vcc
	s_cbranch_execz .LBB22_102
; %bb.101:
	v_add_co_u32_e32 v32, vcc, 0x7000, v32
	s_nop 1
	v_addc_co_u32_e32 v33, vcc, 0, v33, vcc
	s_waitcnt lgkmcnt(0)
	global_store_dwordx2 v[32:33], v[30:31], off
.LBB22_102:
	s_or_b64 exec, exec, s[2:3]
	s_load_dword s0, s[0:1], 0x50
	s_waitcnt lgkmcnt(0)
	s_bfe_u32 s0, s0, 0x10008
	s_cmp_eq_u32 s0, 0
	s_cbranch_scc1 .LBB22_157
; %bb.103:
	s_add_u32 s0, s28, -1
	s_addc_u32 s1, s29, -1
	s_add_u32 s2, 0, 0x11108400
	s_addc_u32 s3, 0, 49
	s_add_i32 s3, s3, 0x111110e0
	s_mul_hi_u32 s9, s2, -15
	s_sub_i32 s9, s9, s2
	s_mul_i32 s10, s3, -15
	s_mul_i32 s4, s2, -15
	s_add_i32 s9, s9, s10
	s_mul_hi_u32 s5, s3, s4
	s_mul_i32 s8, s3, s4
	s_mul_i32 s11, s2, s9
	s_mul_hi_u32 s4, s2, s4
	s_mul_hi_u32 s10, s2, s9
	s_add_u32 s4, s4, s11
	s_addc_u32 s10, 0, s10
	s_add_u32 s4, s4, s8
	s_mul_hi_u32 s11, s3, s9
	s_addc_u32 s4, s10, s5
	s_addc_u32 s5, s11, 0
	s_mul_i32 s8, s3, s9
	s_add_u32 s4, s4, s8
	v_mov_b32_e32 v32, s4
	s_addc_u32 s5, 0, s5
	v_add_co_u32_e32 v32, vcc, s2, v32
	s_cmp_lg_u64 vcc, 0
	s_addc_u32 s2, s3, s5
	v_readfirstlane_b32 s5, v32
	s_mul_i32 s4, s0, s2
	s_mul_hi_u32 s8, s0, s5
	s_mul_hi_u32 s3, s0, s2
	s_add_u32 s4, s8, s4
	s_addc_u32 s3, 0, s3
	s_mul_hi_u32 s9, s1, s5
	s_mul_i32 s5, s1, s5
	s_add_u32 s4, s4, s5
	s_mul_hi_u32 s8, s1, s2
	s_addc_u32 s3, s3, s9
	s_addc_u32 s4, s8, 0
	s_mul_i32 s2, s1, s2
	s_add_u32 s2, s3, s2
	s_addc_u32 s3, 0, s4
	s_add_u32 s4, s2, 1
	s_addc_u32 s5, s3, 0
	s_add_u32 s8, s2, 2
	s_mul_i32 s10, s3, 15
	s_mul_hi_u32 s11, s2, 15
	s_addc_u32 s9, s3, 0
	s_add_i32 s11, s11, s10
	s_mul_i32 s10, s2, 15
	v_mov_b32_e32 v32, s10
	v_sub_co_u32_e32 v32, vcc, s0, v32
	s_cmp_lg_u64 vcc, 0
	s_subb_u32 s10, s1, s11
	v_subrev_co_u32_e32 v33, vcc, 15, v32
	s_cmp_lg_u64 vcc, 0
	s_subb_u32 s11, s10, 0
	v_readfirstlane_b32 s12, v33
	s_cmp_gt_u32 s12, 14
	s_cselect_b32 s12, -1, 0
	s_cmp_eq_u32 s11, 0
	s_cselect_b32 s11, s12, -1
	s_cmp_lg_u32 s11, 0
	s_cselect_b32 s4, s8, s4
	v_readfirstlane_b32 s8, v32
	s_cselect_b32 s5, s9, s5
	s_cmp_gt_u32 s8, 14
	s_cselect_b32 s8, -1, 0
	s_cmp_eq_u32 s10, 0
	s_cselect_b32 s8, s8, -1
	s_cmp_lg_u32 s8, 0
	v_mov_b32_e32 v1, v63
	s_cselect_b32 s3, s5, s3
	s_cselect_b32 s2, s4, s2
	v_cmp_eq_u64_e32 vcc, s[2:3], v[0:1]
	s_and_saveexec_b64 s[2:3], vcc
	s_cbranch_execz .LBB22_157
; %bb.104:
	v_mul_hi_u32_u24_e32 v1, 15, v0
	v_mov_b32_e32 v32, s1
	v_sub_co_u32_e32 v0, vcc, s0, v68
	s_nop 1
	v_subb_co_u32_e32 v1, vcc, v32, v1, vcc
	v_cmp_lt_i64_e32 vcc, 7, v[0:1]
	s_and_saveexec_b64 s[0:1], vcc
	s_xor_b64 s[0:1], exec, s[0:1]
	s_cbranch_execz .LBB22_130
; %bb.105:
	v_cmp_lt_i64_e32 vcc, 10, v[0:1]
	s_and_saveexec_b64 s[2:3], vcc
	s_xor_b64 s[2:3], exec, s[2:3]
	s_cbranch_execz .LBB22_119
; %bb.106:
	;; [unrolled: 5-line block ×4, first 2 shown]
	v_mov_b32_e32 v0, 0
	global_store_dwordx2 v0, v[30:31], s[6:7]
                                        ; implicit-def: $vgpr22_vgpr23_vgpr24_vgpr25
.LBB22_109:
	s_andn2_saveexec_b64 s[8:9], s[8:9]
	s_cbranch_execz .LBB22_111
; %bb.110:
	v_mov_b32_e32 v0, 0
	global_store_dwordx2 v0, v[24:25], s[6:7]
.LBB22_111:
	s_or_b64 exec, exec, s[8:9]
                                        ; implicit-def: $vgpr2_vgpr3_vgpr4_vgpr5
                                        ; implicit-def: $vgpr0_vgpr1
                                        ; implicit-def: $vgpr22_vgpr23_vgpr24_vgpr25
.LBB22_112:
	s_andn2_saveexec_b64 s[4:5], s[4:5]
	s_cbranch_execz .LBB22_118
; %bb.113:
	v_cmp_lt_i64_e32 vcc, 11, v[0:1]
	s_and_saveexec_b64 s[8:9], vcc
	s_xor_b64 s[8:9], exec, s[8:9]
	s_cbranch_execz .LBB22_115
; %bb.114:
	v_mov_b32_e32 v0, 0
	global_store_dwordx2 v0, v[22:23], s[6:7]
                                        ; implicit-def: $vgpr2_vgpr3_vgpr4_vgpr5
.LBB22_115:
	s_andn2_saveexec_b64 s[8:9], s[8:9]
	s_cbranch_execz .LBB22_117
; %bb.116:
	v_mov_b32_e32 v0, 0
	global_store_dwordx2 v0, v[4:5], s[6:7]
.LBB22_117:
	s_or_b64 exec, exec, s[8:9]
.LBB22_118:
	s_or_b64 exec, exec, s[4:5]
                                        ; implicit-def: $vgpr18_vgpr19_vgpr20_vgpr21
                                        ; implicit-def: $vgpr0_vgpr1
                                        ; implicit-def: $vgpr2_vgpr3_vgpr4_vgpr5
.LBB22_119:
	s_andn2_saveexec_b64 s[2:3], s[2:3]
	s_cbranch_execz .LBB22_129
; %bb.120:
	v_cmp_lt_i64_e32 vcc, 8, v[0:1]
	s_and_saveexec_b64 s[4:5], vcc
	s_xor_b64 s[4:5], exec, s[4:5]
	s_cbranch_execz .LBB22_126
; %bb.121:
	v_cmp_lt_i64_e32 vcc, 9, v[0:1]
	s_and_saveexec_b64 s[8:9], vcc
	s_xor_b64 s[8:9], exec, s[8:9]
	s_cbranch_execz .LBB22_123
; %bb.122:
	v_mov_b32_e32 v0, 0
	global_store_dwordx2 v0, v[2:3], s[6:7]
                                        ; implicit-def: $vgpr18_vgpr19_vgpr20_vgpr21
.LBB22_123:
	s_andn2_saveexec_b64 s[8:9], s[8:9]
	s_cbranch_execz .LBB22_125
; %bb.124:
	v_mov_b32_e32 v0, 0
	global_store_dwordx2 v0, v[20:21], s[6:7]
.LBB22_125:
	s_or_b64 exec, exec, s[8:9]
                                        ; implicit-def: $vgpr18_vgpr19_vgpr20_vgpr21
.LBB22_126:
	s_andn2_saveexec_b64 s[4:5], s[4:5]
	s_cbranch_execz .LBB22_128
; %bb.127:
	v_mov_b32_e32 v0, 0
	global_store_dwordx2 v0, v[18:19], s[6:7]
.LBB22_128:
	s_or_b64 exec, exec, s[4:5]
.LBB22_129:
	s_or_b64 exec, exec, s[2:3]
                                        ; implicit-def: $vgpr0_vgpr1
                                        ; implicit-def: $vgpr6_vgpr7_vgpr8_vgpr9
                                        ; implicit-def: $vgpr10_vgpr11_vgpr12_vgpr13
                                        ; implicit-def: $vgpr14_vgpr15_vgpr16_vgpr17
                                        ; implicit-def: $vgpr26_vgpr27_vgpr28_vgpr29
.LBB22_130:
	s_andn2_saveexec_b64 s[0:1], s[0:1]
	s_cbranch_execz .LBB22_157
; %bb.131:
	v_cmp_lt_i64_e32 vcc, 3, v[0:1]
	s_and_saveexec_b64 s[0:1], vcc
	s_xor_b64 s[0:1], exec, s[0:1]
	s_cbranch_execz .LBB22_145
; %bb.132:
	v_cmp_lt_i64_e32 vcc, 5, v[0:1]
	s_and_saveexec_b64 s[2:3], vcc
	s_xor_b64 s[2:3], exec, s[2:3]
	;; [unrolled: 5-line block ×3, first 2 shown]
	s_cbranch_execz .LBB22_135
; %bb.134:
	v_mov_b32_e32 v0, 0
	global_store_dwordx2 v0, v[28:29], s[6:7]
                                        ; implicit-def: $vgpr26_vgpr27_vgpr28_vgpr29
.LBB22_135:
	s_andn2_saveexec_b64 s[4:5], s[4:5]
	s_cbranch_execz .LBB22_137
; %bb.136:
	v_mov_b32_e32 v0, 0
	global_store_dwordx2 v0, v[26:27], s[6:7]
.LBB22_137:
	s_or_b64 exec, exec, s[4:5]
                                        ; implicit-def: $vgpr10_vgpr11_vgpr12_vgpr13
                                        ; implicit-def: $vgpr0_vgpr1
.LBB22_138:
	s_andn2_saveexec_b64 s[2:3], s[2:3]
	s_cbranch_execz .LBB22_144
; %bb.139:
	v_cmp_lt_i64_e32 vcc, 4, v[0:1]
	s_and_saveexec_b64 s[4:5], vcc
	s_xor_b64 s[4:5], exec, s[4:5]
	s_cbranch_execz .LBB22_141
; %bb.140:
	v_mov_b32_e32 v0, 0
	global_store_dwordx2 v0, v[12:13], s[6:7]
                                        ; implicit-def: $vgpr10_vgpr11_vgpr12_vgpr13
.LBB22_141:
	s_andn2_saveexec_b64 s[4:5], s[4:5]
	s_cbranch_execz .LBB22_143
; %bb.142:
	v_mov_b32_e32 v0, 0
	global_store_dwordx2 v0, v[10:11], s[6:7]
.LBB22_143:
	s_or_b64 exec, exec, s[4:5]
.LBB22_144:
	s_or_b64 exec, exec, s[2:3]
                                        ; implicit-def: $vgpr0_vgpr1
                                        ; implicit-def: $vgpr6_vgpr7_vgpr8_vgpr9
                                        ; implicit-def: $vgpr14_vgpr15_vgpr16_vgpr17
.LBB22_145:
	s_andn2_saveexec_b64 s[0:1], s[0:1]
	s_cbranch_execz .LBB22_157
; %bb.146:
	v_cmp_lt_i64_e32 vcc, 1, v[0:1]
	s_and_saveexec_b64 s[0:1], vcc
	s_xor_b64 s[0:1], exec, s[0:1]
	s_cbranch_execz .LBB22_152
; %bb.147:
	v_cmp_lt_i64_e32 vcc, 2, v[0:1]
	s_and_saveexec_b64 s[2:3], vcc
	s_xor_b64 s[2:3], exec, s[2:3]
	s_cbranch_execz .LBB22_149
; %bb.148:
	v_mov_b32_e32 v0, 0
	global_store_dwordx2 v0, v[16:17], s[6:7]
                                        ; implicit-def: $vgpr14_vgpr15_vgpr16_vgpr17
.LBB22_149:
	s_andn2_saveexec_b64 s[2:3], s[2:3]
	s_cbranch_execz .LBB22_151
; %bb.150:
	v_mov_b32_e32 v0, 0
	global_store_dwordx2 v0, v[14:15], s[6:7]
.LBB22_151:
	s_or_b64 exec, exec, s[2:3]
                                        ; implicit-def: $vgpr6_vgpr7_vgpr8_vgpr9
                                        ; implicit-def: $vgpr0_vgpr1
.LBB22_152:
	s_andn2_saveexec_b64 s[0:1], s[0:1]
	s_cbranch_execz .LBB22_157
; %bb.153:
	v_cmp_ne_u64_e32 vcc, 1, v[0:1]
	s_and_saveexec_b64 s[0:1], vcc
	s_xor_b64 s[0:1], exec, s[0:1]
	s_cbranch_execz .LBB22_155
; %bb.154:
	v_mov_b32_e32 v0, 0
	global_store_dwordx2 v0, v[6:7], s[6:7]
                                        ; implicit-def: $vgpr6_vgpr7_vgpr8_vgpr9
.LBB22_155:
	s_andn2_saveexec_b64 s[0:1], s[0:1]
	s_cbranch_execz .LBB22_157
; %bb.156:
	v_mov_b32_e32 v0, 0
	global_store_dwordx2 v0, v[8:9], s[6:7]
.LBB22_157:
	s_endpgm
	.section	.rodata,"a",@progbits
	.p2align	6, 0x0
	.amdhsa_kernel _ZN7rocprim17ROCPRIM_304000_NS6detail20lookback_scan_kernelILNS1_25lookback_scan_determinismE0ELb1ENS1_19wrapped_scan_configINS0_14default_configElEEN6hipcub22TransformInputIteratorIbN2at4cuda3cub12_GLOBAL__N_111CountMaskOpEPKhlEEPlNSC_5SumOpIlEEllNS1_19lookback_scan_stateIlLb0ELb1EEEEEvT2_T3_mT5_T4_T7_jPT6_SS_bb
		.amdhsa_group_segment_fixed_size 30720
		.amdhsa_private_segment_fixed_size 0
		.amdhsa_kernarg_size 84
		.amdhsa_user_sgpr_count 2
		.amdhsa_user_sgpr_dispatch_ptr 0
		.amdhsa_user_sgpr_queue_ptr 0
		.amdhsa_user_sgpr_kernarg_segment_ptr 1
		.amdhsa_user_sgpr_dispatch_id 0
		.amdhsa_user_sgpr_kernarg_preload_length 0
		.amdhsa_user_sgpr_kernarg_preload_offset 0
		.amdhsa_user_sgpr_private_segment_size 0
		.amdhsa_uses_dynamic_stack 0
		.amdhsa_enable_private_segment 0
		.amdhsa_system_sgpr_workgroup_id_x 1
		.amdhsa_system_sgpr_workgroup_id_y 0
		.amdhsa_system_sgpr_workgroup_id_z 0
		.amdhsa_system_sgpr_workgroup_info 0
		.amdhsa_system_vgpr_workitem_id 0
		.amdhsa_next_free_vgpr 72
		.amdhsa_next_free_sgpr 30
		.amdhsa_accum_offset 72
		.amdhsa_reserve_vcc 1
		.amdhsa_float_round_mode_32 0
		.amdhsa_float_round_mode_16_64 0
		.amdhsa_float_denorm_mode_32 3
		.amdhsa_float_denorm_mode_16_64 3
		.amdhsa_dx10_clamp 1
		.amdhsa_ieee_mode 1
		.amdhsa_fp16_overflow 0
		.amdhsa_tg_split 0
		.amdhsa_exception_fp_ieee_invalid_op 0
		.amdhsa_exception_fp_denorm_src 0
		.amdhsa_exception_fp_ieee_div_zero 0
		.amdhsa_exception_fp_ieee_overflow 0
		.amdhsa_exception_fp_ieee_underflow 0
		.amdhsa_exception_fp_ieee_inexact 0
		.amdhsa_exception_int_div_zero 0
	.end_amdhsa_kernel
	.section	.text._ZN7rocprim17ROCPRIM_304000_NS6detail20lookback_scan_kernelILNS1_25lookback_scan_determinismE0ELb1ENS1_19wrapped_scan_configINS0_14default_configElEEN6hipcub22TransformInputIteratorIbN2at4cuda3cub12_GLOBAL__N_111CountMaskOpEPKhlEEPlNSC_5SumOpIlEEllNS1_19lookback_scan_stateIlLb0ELb1EEEEEvT2_T3_mT5_T4_T7_jPT6_SS_bb,"axG",@progbits,_ZN7rocprim17ROCPRIM_304000_NS6detail20lookback_scan_kernelILNS1_25lookback_scan_determinismE0ELb1ENS1_19wrapped_scan_configINS0_14default_configElEEN6hipcub22TransformInputIteratorIbN2at4cuda3cub12_GLOBAL__N_111CountMaskOpEPKhlEEPlNSC_5SumOpIlEEllNS1_19lookback_scan_stateIlLb0ELb1EEEEEvT2_T3_mT5_T4_T7_jPT6_SS_bb,comdat
.Lfunc_end22:
	.size	_ZN7rocprim17ROCPRIM_304000_NS6detail20lookback_scan_kernelILNS1_25lookback_scan_determinismE0ELb1ENS1_19wrapped_scan_configINS0_14default_configElEEN6hipcub22TransformInputIteratorIbN2at4cuda3cub12_GLOBAL__N_111CountMaskOpEPKhlEEPlNSC_5SumOpIlEEllNS1_19lookback_scan_stateIlLb0ELb1EEEEEvT2_T3_mT5_T4_T7_jPT6_SS_bb, .Lfunc_end22-_ZN7rocprim17ROCPRIM_304000_NS6detail20lookback_scan_kernelILNS1_25lookback_scan_determinismE0ELb1ENS1_19wrapped_scan_configINS0_14default_configElEEN6hipcub22TransformInputIteratorIbN2at4cuda3cub12_GLOBAL__N_111CountMaskOpEPKhlEEPlNSC_5SumOpIlEEllNS1_19lookback_scan_stateIlLb0ELb1EEEEEvT2_T3_mT5_T4_T7_jPT6_SS_bb
                                        ; -- End function
	.section	.AMDGPU.csdata,"",@progbits
; Kernel info:
; codeLenInByte = 7812
; NumSgprs: 36
; NumVgprs: 72
; NumAgprs: 0
; TotalNumVgprs: 72
; ScratchSize: 0
; MemoryBound: 0
; FloatMode: 240
; IeeeMode: 1
; LDSByteSize: 30720 bytes/workgroup (compile time only)
; SGPRBlocks: 4
; VGPRBlocks: 8
; NumSGPRsForWavesPerEU: 36
; NumVGPRsForWavesPerEU: 72
; AccumOffset: 72
; Occupancy: 2
; WaveLimiterHint : 1
; COMPUTE_PGM_RSRC2:SCRATCH_EN: 0
; COMPUTE_PGM_RSRC2:USER_SGPR: 2
; COMPUTE_PGM_RSRC2:TRAP_HANDLER: 0
; COMPUTE_PGM_RSRC2:TGID_X_EN: 1
; COMPUTE_PGM_RSRC2:TGID_Y_EN: 0
; COMPUTE_PGM_RSRC2:TGID_Z_EN: 0
; COMPUTE_PGM_RSRC2:TIDIG_COMP_CNT: 0
; COMPUTE_PGM_RSRC3_GFX90A:ACCUM_OFFSET: 17
; COMPUTE_PGM_RSRC3_GFX90A:TG_SPLIT: 0
	.section	.text._ZN7rocprim17ROCPRIM_304000_NS6detail18single_scan_kernelILb1ENS1_19wrapped_scan_configINS0_14default_configElEEN6hipcub22TransformInputIteratorIbN2at4cuda3cub12_GLOBAL__N_111CountMaskOpEPKhlEEPlNSB_5SumOpIlEEllEEvT1_mT4_T2_T3_,"axG",@progbits,_ZN7rocprim17ROCPRIM_304000_NS6detail18single_scan_kernelILb1ENS1_19wrapped_scan_configINS0_14default_configElEEN6hipcub22TransformInputIteratorIbN2at4cuda3cub12_GLOBAL__N_111CountMaskOpEPKhlEEPlNSB_5SumOpIlEEllEEvT1_mT4_T2_T3_,comdat
	.globl	_ZN7rocprim17ROCPRIM_304000_NS6detail18single_scan_kernelILb1ENS1_19wrapped_scan_configINS0_14default_configElEEN6hipcub22TransformInputIteratorIbN2at4cuda3cub12_GLOBAL__N_111CountMaskOpEPKhlEEPlNSB_5SumOpIlEEllEEvT1_mT4_T2_T3_ ; -- Begin function _ZN7rocprim17ROCPRIM_304000_NS6detail18single_scan_kernelILb1ENS1_19wrapped_scan_configINS0_14default_configElEEN6hipcub22TransformInputIteratorIbN2at4cuda3cub12_GLOBAL__N_111CountMaskOpEPKhlEEPlNSB_5SumOpIlEEllEEvT1_mT4_T2_T3_
	.p2align	8
	.type	_ZN7rocprim17ROCPRIM_304000_NS6detail18single_scan_kernelILb1ENS1_19wrapped_scan_configINS0_14default_configElEEN6hipcub22TransformInputIteratorIbN2at4cuda3cub12_GLOBAL__N_111CountMaskOpEPKhlEEPlNSB_5SumOpIlEEllEEvT1_mT4_T2_T3_,@function
_ZN7rocprim17ROCPRIM_304000_NS6detail18single_scan_kernelILb1ENS1_19wrapped_scan_configINS0_14default_configElEEN6hipcub22TransformInputIteratorIbN2at4cuda3cub12_GLOBAL__N_111CountMaskOpEPKhlEEPlNSB_5SumOpIlEEllEEvT1_mT4_T2_T3_: ; @_ZN7rocprim17ROCPRIM_304000_NS6detail18single_scan_kernelILb1ENS1_19wrapped_scan_configINS0_14default_configElEEN6hipcub22TransformInputIteratorIbN2at4cuda3cub12_GLOBAL__N_111CountMaskOpEPKhlEEPlNSB_5SumOpIlEEllEEvT1_mT4_T2_T3_
; %bb.0:
	s_load_dwordx2 s[4:5], s[0:1], 0x0
	s_load_dwordx4 s[36:39], s[0:1], 0x10
	v_mov_b32_e32 v1, 0
	s_mov_b32 s2, 0
	v_mov_b32_e32 v3, s2
	s_waitcnt lgkmcnt(0)
	global_load_ubyte v2, v1, s[4:5]
	v_mov_b32_e32 v5, v1
	v_mov_b32_e32 v7, v1
	;; [unrolled: 1-line block ×14, first 2 shown]
	v_lshl_add_u64 v[34:35], s[4:5], 0, v[0:1]
	s_waitcnt vmcnt(0)
	v_cmp_ne_u16_e32 vcc, 0, v2
	s_nop 1
	v_cndmask_b32_e64 v2, 0, 1, vcc
	v_mov_b32_e32 v4, v2
	v_mov_b32_e32 v6, v2
	;; [unrolled: 1-line block ×14, first 2 shown]
	v_cmp_gt_u32_e32 vcc, s36, v0
	s_and_saveexec_b64 s[4:5], vcc
	s_cbranch_execz .LBB23_2
; %bb.1:
	global_load_ubyte v30, v[34:35], off
	v_mov_b32_e32 v3, v1
	v_mov_b32_e32 v4, v2
	;; [unrolled: 1-line block ×28, first 2 shown]
	s_waitcnt vmcnt(0)
	v_cmp_ne_u16_e64 s[2:3], 0, v30
	v_mov_b64_e32 v[32:33], v[30:31]
	s_nop 0
	v_cndmask_b32_e64 v36, 0, 1, s[2:3]
	v_mov_b64_e32 v[30:31], v[28:29]
	v_mov_b64_e32 v[28:29], v[26:27]
	;; [unrolled: 1-line block ×16, first 2 shown]
.LBB23_2:
	s_or_b64 exec, exec, s[4:5]
	v_or_b32_e32 v1, 0x100, v0
	v_cmp_gt_u32_e64 s[28:29], s36, v1
	s_and_saveexec_b64 s[4:5], s[28:29]
	s_cbranch_execz .LBB23_4
; %bb.3:
	global_load_ubyte v1, v[34:35], off offset:256
	v_mov_b32_e32 v5, 0
	s_waitcnt vmcnt(0)
	v_cmp_ne_u16_e64 s[2:3], 0, v1
	s_nop 1
	v_cndmask_b32_e64 v4, 0, 1, s[2:3]
.LBB23_4:
	s_or_b64 exec, exec, s[4:5]
	v_or_b32_e32 v1, 0x200, v0
	v_cmp_gt_u32_e64 s[2:3], s36, v1
	s_and_saveexec_b64 s[6:7], s[2:3]
	s_cbranch_execz .LBB23_6
; %bb.5:
	global_load_ubyte v1, v[34:35], off offset:512
	v_mov_b32_e32 v7, 0
	s_waitcnt vmcnt(0)
	v_cmp_ne_u16_e64 s[4:5], 0, v1
	s_nop 1
	v_cndmask_b32_e64 v6, 0, 1, s[4:5]
.LBB23_6:
	;; [unrolled: 13-line block ×12, first 2 shown]
	s_or_b64 exec, exec, s[26:27]
	s_load_dwordx2 s[30:31], s[0:1], 0x20
	v_or_b32_e32 v1, 0xd00, v0
	v_cmp_gt_u32_e64 s[24:25], s36, v1
	s_and_saveexec_b64 s[26:27], s[24:25]
	s_cbranch_execz .LBB23_28
; %bb.27:
	global_load_ubyte v1, v[34:35], off offset:3328
	v_mov_b32_e32 v29, 0
	s_waitcnt vmcnt(0)
	v_cmp_ne_u16_e64 s[0:1], 0, v1
	s_nop 1
	v_cndmask_b32_e64 v28, 0, 1, s[0:1]
.LBB23_28:
	s_or_b64 exec, exec, s[26:27]
	v_or_b32_e32 v1, 0xe00, v0
	v_cmp_gt_u32_e64 s[26:27], s36, v1
	s_and_saveexec_b64 s[34:35], s[26:27]
	s_cbranch_execz .LBB23_30
; %bb.29:
	global_load_ubyte v1, v[34:35], off offset:3584
	v_mov_b32_e32 v31, 0
	s_waitcnt vmcnt(0)
	v_cmp_ne_u16_e64 s[0:1], 0, v1
	s_nop 1
	v_cndmask_b32_e64 v30, 0, 1, s[0:1]
.LBB23_30:
	s_or_b64 exec, exec, s[34:35]
	v_lshlrev_b32_e32 v32, 3, v0
	s_movk_i32 s0, 0x70
	v_mad_u32_u24 v1, v0, s0, v32
	ds_write2st64_b64 v32, v[2:3], v[4:5] offset1:4
	ds_write2st64_b64 v32, v[6:7], v[8:9] offset0:8 offset1:12
	ds_write2st64_b64 v32, v[10:11], v[12:13] offset0:16 offset1:20
	;; [unrolled: 1-line block ×6, first 2 shown]
	ds_write_b64 v32, v[30:31] offset:28672
	s_waitcnt lgkmcnt(0)
	s_barrier
	ds_read2_b64 v[2:5], v1 offset1:1
	ds_read2_b64 v[6:9], v1 offset0:2 offset1:3
	ds_read2_b64 v[10:13], v1 offset0:4 offset1:5
	;; [unrolled: 1-line block ×6, first 2 shown]
	ds_read_b64 v[30:31], v1 offset:112
	s_waitcnt lgkmcnt(7)
	v_lshl_add_u64 v[34:35], v[4:5], 0, v[2:3]
	s_waitcnt lgkmcnt(6)
	v_lshl_add_u64 v[34:35], v[34:35], 0, v[6:7]
	v_lshl_add_u64 v[34:35], v[34:35], 0, v[8:9]
	s_waitcnt lgkmcnt(5)
	v_lshl_add_u64 v[34:35], v[34:35], 0, v[10:11]
	;; [unrolled: 3-line block ×6, first 2 shown]
	v_lshrrev_b32_e32 v1, 2, v0
	v_lshl_add_u64 v[34:35], v[34:35], 0, v[28:29]
	v_and_b32_e32 v1, 56, v1
	s_waitcnt lgkmcnt(0)
	v_lshl_add_u64 v[30:31], v[34:35], 0, v[30:31]
	v_add_u32_e32 v1, v32, v1
	v_cmp_gt_u32_e64 s[0:1], 64, v0
	s_barrier
	ds_write_b64 v1, v[30:31]
	s_waitcnt lgkmcnt(0)
	s_barrier
	s_and_saveexec_b64 s[34:35], s[0:1]
	s_cbranch_execz .LBB23_32
; %bb.31:
	v_lshlrev_b32_e32 v1, 2, v0
	v_lshrrev_b32_e32 v33, 3, v0
	v_add_lshl_u32 v1, v33, v1, 3
	ds_read2_b64 v[34:37], v1 offset1:1
	ds_read2_b64 v[38:41], v1 offset0:2 offset1:3
	v_mbcnt_lo_u32_b32 v33, -1, 0
	v_mov_b32_e32 v42, 0
	v_mbcnt_hi_u32_b32 v33, -1, v33
	s_waitcnt lgkmcnt(1)
	v_lshl_add_u64 v[44:45], v[36:37], 0, v[34:35]
	s_waitcnt lgkmcnt(0)
	v_lshl_add_u64 v[44:45], v[44:45], 0, v[38:39]
	v_lshl_add_u64 v[44:45], v[44:45], 0, v[40:41]
	v_and_b32_e32 v50, 15, v33
	v_mov_b32_e32 v47, v42
	v_mov_b32_dpp v46, v44 row_shr:1 row_mask:0xf bank_mask:0xf
	v_mov_b32_dpp v43, v45 row_shr:1 row_mask:0xf bank_mask:0xf
	v_lshl_add_u64 v[46:47], v[44:45], 0, v[46:47]
	v_cmp_eq_u32_e64 s[0:1], 0, v50
	v_lshl_add_u64 v[48:49], v[42:43], 0, v[46:47]
	v_mov_b32_e32 v47, v42
	v_cndmask_b32_e64 v51, v46, v44, s[0:1]
	v_cndmask_b32_e64 v45, v49, v45, s[0:1]
	v_cndmask_b32_e64 v44, v48, v44, s[0:1]
	v_mov_b32_dpp v46, v51 row_shr:2 row_mask:0xf bank_mask:0xf
	v_mov_b32_dpp v43, v45 row_shr:2 row_mask:0xf bank_mask:0xf
	v_lshl_add_u64 v[46:47], v[44:45], 0, v[46:47]
	v_cmp_lt_u32_e64 s[0:1], 1, v50
	v_lshl_add_u64 v[48:49], v[46:47], 0, v[42:43]
	v_mov_b32_e32 v47, v42
	v_cndmask_b32_e64 v51, v51, v46, s[0:1]
	v_cndmask_b32_e64 v45, v45, v49, s[0:1]
	v_cndmask_b32_e64 v44, v44, v48, s[0:1]
	v_mov_b32_dpp v46, v51 row_shr:4 row_mask:0xf bank_mask:0xf
	v_mov_b32_dpp v43, v45 row_shr:4 row_mask:0xf bank_mask:0xf
	v_lshl_add_u64 v[46:47], v[44:45], 0, v[46:47]
	v_cmp_lt_u32_e64 s[0:1], 3, v50
	v_lshl_add_u64 v[48:49], v[46:47], 0, v[42:43]
	v_mov_b32_e32 v47, v42
	v_cndmask_b32_e64 v51, v51, v46, s[0:1]
	v_cndmask_b32_e64 v45, v45, v49, s[0:1]
	v_cndmask_b32_e64 v44, v44, v48, s[0:1]
	v_mov_b32_dpp v46, v51 row_shr:8 row_mask:0xf bank_mask:0xf
	v_mov_b32_dpp v43, v45 row_shr:8 row_mask:0xf bank_mask:0xf
	v_lshl_add_u64 v[46:47], v[44:45], 0, v[46:47]
	v_cmp_lt_u32_e64 s[0:1], 7, v50
	v_lshl_add_u64 v[48:49], v[46:47], 0, v[42:43]
	v_mov_b32_e32 v47, v42
	v_cndmask_b32_e64 v50, v51, v46, s[0:1]
	v_cndmask_b32_e64 v45, v45, v49, s[0:1]
	;; [unrolled: 1-line block ×3, first 2 shown]
	v_mov_b32_dpp v46, v50 row_bcast:15 row_mask:0xf bank_mask:0xf
	v_and_b32_e32 v51, 16, v33
	v_mov_b32_dpp v43, v45 row_bcast:15 row_mask:0xf bank_mask:0xf
	v_lshl_add_u64 v[46:47], v[44:45], 0, v[46:47]
	v_cmp_eq_u32_e64 s[0:1], 0, v51
	v_lshl_add_u64 v[48:49], v[46:47], 0, v[42:43]
	v_mov_b32_e32 v47, v42
	v_cndmask_b32_e64 v43, v46, v50, s[0:1]
	v_cndmask_b32_e64 v45, v49, v45, s[0:1]
	;; [unrolled: 1-line block ×3, first 2 shown]
	v_mov_b32_dpp v46, v43 row_bcast:31 row_mask:0xf bank_mask:0xf
	v_mov_b32_dpp v48, v45 row_bcast:31 row_mask:0xf bank_mask:0xf
	v_lshl_add_u64 v[46:47], v[44:45], 0, v[46:47]
	v_add_u32_e32 v44, v48, v47
	v_cmp_lt_u32_e64 s[0:1], 31, v33
	s_nop 1
	v_cndmask_b32_e64 v43, v43, v46, s[0:1]
	v_cndmask_b32_e64 v45, v45, v44, s[0:1]
	v_add_u32_e32 v44, -1, v33
	v_and_b32_e32 v46, 64, v33
	v_cmp_lt_i32_e64 s[0:1], v44, v46
	s_nop 1
	v_cndmask_b32_e64 v33, v44, v33, s[0:1]
	v_lshlrev_b32_e32 v33, 2, v33
	ds_bpermute_b32 v44, v33, v43
	ds_bpermute_b32 v43, v33, v45
	v_mov_b32_e32 v45, v42
	v_cmp_eq_u32_e64 s[0:1], 0, v0
	s_waitcnt lgkmcnt(1)
	v_lshl_add_u64 v[34:35], v[34:35], 0, v[44:45]
	s_waitcnt lgkmcnt(0)
	v_lshl_add_u64 v[34:35], v[34:35], 0, v[42:43]
	v_cndmask_b32_e64 v31, v35, v31, s[0:1]
	v_cndmask_b32_e64 v30, v34, v30, s[0:1]
	v_lshl_add_u64 v[34:35], v[30:31], 0, v[36:37]
	ds_write2_b64 v1, v[30:31], v[34:35] offset1:1
	v_lshl_add_u64 v[30:31], v[34:35], 0, v[38:39]
	v_lshl_add_u64 v[34:35], v[30:31], 0, v[40:41]
	ds_write2_b64 v1, v[30:31], v[34:35] offset0:2 offset1:3
.LBB23_32:
	s_or_b64 exec, exec, s[34:35]
	v_mul_u32_u24_e32 v1, 0x70, v0
	v_cmp_ne_u32_e64 s[0:1], 0, v0
	v_mov_b64_e32 v[30:31], s[38:39]
	s_waitcnt lgkmcnt(0)
	s_barrier
	s_and_saveexec_b64 s[34:35], s[0:1]
	s_cbranch_execz .LBB23_34
; %bb.33:
	v_add_u32_e32 v0, -1, v0
	v_lshrrev_b32_e32 v30, 5, v0
	v_add_lshl_u32 v0, v30, v0, 3
	ds_read_b64 v[30:31], v0
	s_waitcnt lgkmcnt(0)
	v_lshl_add_u64 v[30:31], v[30:31], 0, s[38:39]
.LBB23_34:
	s_or_b64 exec, exec, s[34:35]
	v_lshl_add_u64 v[2:3], v[30:31], 0, v[2:3]
	v_lshl_add_u64 v[4:5], v[2:3], 0, v[4:5]
	;; [unrolled: 1-line block ×13, first 2 shown]
	v_add_u32_e32 v0, v32, v1
	v_lshl_add_u64 v[28:29], v[26:27], 0, v[28:29]
	s_barrier
	ds_write2_b64 v0, v[30:31], v[2:3] offset1:1
	ds_write2_b64 v0, v[4:5], v[6:7] offset0:2 offset1:3
	ds_write2_b64 v0, v[8:9], v[10:11] offset0:4 offset1:5
	;; [unrolled: 1-line block ×6, first 2 shown]
	ds_write_b64 v0, v[28:29] offset:112
	s_waitcnt lgkmcnt(0)
	s_barrier
	ds_read2st64_b64 v[24:27], v32 offset0:4 offset1:8
	ds_read2st64_b64 v[20:23], v32 offset0:12 offset1:16
	;; [unrolled: 1-line block ×7, first 2 shown]
	v_mov_b32_e32 v33, 0
	v_lshl_add_u64 v[28:29], s[30:31], 0, v[32:33]
	s_and_saveexec_b64 s[0:1], vcc
	s_cbranch_execnz .LBB23_50
; %bb.35:
	s_or_b64 exec, exec, s[0:1]
	s_and_saveexec_b64 s[0:1], s[28:29]
	s_cbranch_execnz .LBB23_51
.LBB23_36:
	s_or_b64 exec, exec, s[0:1]
	s_and_saveexec_b64 s[0:1], s[2:3]
	s_cbranch_execnz .LBB23_52
.LBB23_37:
	s_or_b64 exec, exec, s[0:1]
	s_and_saveexec_b64 s[0:1], s[4:5]
	s_cbranch_execnz .LBB23_53
.LBB23_38:
	s_or_b64 exec, exec, s[0:1]
	s_and_saveexec_b64 s[0:1], s[6:7]
	s_cbranch_execnz .LBB23_54
.LBB23_39:
	s_or_b64 exec, exec, s[0:1]
	s_and_saveexec_b64 s[0:1], s[8:9]
	s_cbranch_execnz .LBB23_55
.LBB23_40:
	s_or_b64 exec, exec, s[0:1]
	s_and_saveexec_b64 s[0:1], s[10:11]
	s_cbranch_execnz .LBB23_56
.LBB23_41:
	s_or_b64 exec, exec, s[0:1]
	s_and_saveexec_b64 s[0:1], s[12:13]
	s_cbranch_execnz .LBB23_57
.LBB23_42:
	s_or_b64 exec, exec, s[0:1]
	s_and_saveexec_b64 s[0:1], s[14:15]
	s_cbranch_execnz .LBB23_58
.LBB23_43:
	s_or_b64 exec, exec, s[0:1]
	s_and_saveexec_b64 s[0:1], s[16:17]
	s_cbranch_execnz .LBB23_59
.LBB23_44:
	s_or_b64 exec, exec, s[0:1]
	s_and_saveexec_b64 s[0:1], s[18:19]
	s_cbranch_execnz .LBB23_60
.LBB23_45:
	s_or_b64 exec, exec, s[0:1]
	s_and_saveexec_b64 s[0:1], s[20:21]
	s_cbranch_execnz .LBB23_61
.LBB23_46:
	s_or_b64 exec, exec, s[0:1]
	s_and_saveexec_b64 s[0:1], s[22:23]
	s_cbranch_execnz .LBB23_62
.LBB23_47:
	s_or_b64 exec, exec, s[0:1]
	s_and_saveexec_b64 s[0:1], s[24:25]
	s_cbranch_execnz .LBB23_63
.LBB23_48:
	s_or_b64 exec, exec, s[0:1]
	s_and_saveexec_b64 s[0:1], s[26:27]
	s_cbranch_execnz .LBB23_64
.LBB23_49:
	s_endpgm
.LBB23_50:
	ds_read_b64 v[30:31], v32
	s_waitcnt lgkmcnt(0)
	global_store_dwordx2 v[28:29], v[30:31], off
	s_or_b64 exec, exec, s[0:1]
	s_and_saveexec_b64 s[0:1], s[28:29]
	s_cbranch_execz .LBB23_36
.LBB23_51:
	s_waitcnt lgkmcnt(6)
	global_store_dwordx2 v[28:29], v[24:25], off offset:2048
	s_or_b64 exec, exec, s[0:1]
	s_and_saveexec_b64 s[0:1], s[2:3]
	s_cbranch_execz .LBB23_37
.LBB23_52:
	s_waitcnt lgkmcnt(6)
	v_add_co_u32_e32 v24, vcc, 0x1000, v28
	s_nop 1
	v_addc_co_u32_e32 v25, vcc, 0, v29, vcc
	global_store_dwordx2 v[24:25], v[26:27], off
	s_or_b64 exec, exec, s[0:1]
	s_and_saveexec_b64 s[0:1], s[4:5]
	s_cbranch_execz .LBB23_38
.LBB23_53:
	s_waitcnt lgkmcnt(6)
	v_add_co_u32_e32 v24, vcc, 0x1000, v28
	s_nop 1
	v_addc_co_u32_e32 v25, vcc, 0, v29, vcc
	s_waitcnt lgkmcnt(5)
	global_store_dwordx2 v[24:25], v[20:21], off offset:2048
	s_or_b64 exec, exec, s[0:1]
	s_and_saveexec_b64 s[0:1], s[6:7]
	s_cbranch_execz .LBB23_39
.LBB23_54:
	s_waitcnt lgkmcnt(5)
	v_add_co_u32_e32 v20, vcc, 0x2000, v28
	s_nop 1
	v_addc_co_u32_e32 v21, vcc, 0, v29, vcc
	global_store_dwordx2 v[20:21], v[22:23], off
	s_or_b64 exec, exec, s[0:1]
	s_and_saveexec_b64 s[0:1], s[8:9]
	s_cbranch_execz .LBB23_40
.LBB23_55:
	s_waitcnt lgkmcnt(5)
	v_add_co_u32_e32 v20, vcc, 0x2000, v28
	s_nop 1
	v_addc_co_u32_e32 v21, vcc, 0, v29, vcc
	s_waitcnt lgkmcnt(4)
	global_store_dwordx2 v[20:21], v[16:17], off offset:2048
	s_or_b64 exec, exec, s[0:1]
	s_and_saveexec_b64 s[0:1], s[10:11]
	s_cbranch_execz .LBB23_41
.LBB23_56:
	s_waitcnt lgkmcnt(4)
	v_add_co_u32_e32 v16, vcc, 0x3000, v28
	s_nop 1
	v_addc_co_u32_e32 v17, vcc, 0, v29, vcc
	global_store_dwordx2 v[16:17], v[18:19], off
	s_or_b64 exec, exec, s[0:1]
	s_and_saveexec_b64 s[0:1], s[12:13]
	s_cbranch_execz .LBB23_42
.LBB23_57:
	s_waitcnt lgkmcnt(4)
	v_add_co_u32_e32 v16, vcc, 0x3000, v28
	s_nop 1
	v_addc_co_u32_e32 v17, vcc, 0, v29, vcc
	s_waitcnt lgkmcnt(3)
	global_store_dwordx2 v[16:17], v[12:13], off offset:2048
	s_or_b64 exec, exec, s[0:1]
	s_and_saveexec_b64 s[0:1], s[14:15]
	s_cbranch_execz .LBB23_43
.LBB23_58:
	s_waitcnt lgkmcnt(3)
	v_add_co_u32_e32 v12, vcc, 0x4000, v28
	s_nop 1
	v_addc_co_u32_e32 v13, vcc, 0, v29, vcc
	global_store_dwordx2 v[12:13], v[14:15], off
	s_or_b64 exec, exec, s[0:1]
	s_and_saveexec_b64 s[0:1], s[16:17]
	s_cbranch_execz .LBB23_44
.LBB23_59:
	s_waitcnt lgkmcnt(3)
	v_add_co_u32_e32 v12, vcc, 0x4000, v28
	s_nop 1
	v_addc_co_u32_e32 v13, vcc, 0, v29, vcc
	s_waitcnt lgkmcnt(2)
	global_store_dwordx2 v[12:13], v[8:9], off offset:2048
	s_or_b64 exec, exec, s[0:1]
	s_and_saveexec_b64 s[0:1], s[18:19]
	s_cbranch_execz .LBB23_45
.LBB23_60:
	s_waitcnt lgkmcnt(2)
	v_add_co_u32_e32 v8, vcc, 0x5000, v28
	s_nop 1
	v_addc_co_u32_e32 v9, vcc, 0, v29, vcc
	global_store_dwordx2 v[8:9], v[10:11], off
	s_or_b64 exec, exec, s[0:1]
	s_and_saveexec_b64 s[0:1], s[20:21]
	s_cbranch_execz .LBB23_46
.LBB23_61:
	s_waitcnt lgkmcnt(2)
	v_add_co_u32_e32 v8, vcc, 0x5000, v28
	s_nop 1
	v_addc_co_u32_e32 v9, vcc, 0, v29, vcc
	s_waitcnt lgkmcnt(1)
	global_store_dwordx2 v[8:9], v[4:5], off offset:2048
	s_or_b64 exec, exec, s[0:1]
	s_and_saveexec_b64 s[0:1], s[22:23]
	s_cbranch_execz .LBB23_47
.LBB23_62:
	s_waitcnt lgkmcnt(1)
	v_add_co_u32_e32 v4, vcc, 0x6000, v28
	s_nop 1
	v_addc_co_u32_e32 v5, vcc, 0, v29, vcc
	global_store_dwordx2 v[4:5], v[6:7], off
	s_or_b64 exec, exec, s[0:1]
	s_and_saveexec_b64 s[0:1], s[24:25]
	s_cbranch_execz .LBB23_48
.LBB23_63:
	s_waitcnt lgkmcnt(1)
	v_add_co_u32_e32 v4, vcc, 0x6000, v28
	s_nop 1
	v_addc_co_u32_e32 v5, vcc, 0, v29, vcc
	s_waitcnt lgkmcnt(0)
	global_store_dwordx2 v[4:5], v[0:1], off offset:2048
	s_or_b64 exec, exec, s[0:1]
	s_and_saveexec_b64 s[0:1], s[26:27]
	s_cbranch_execz .LBB23_49
.LBB23_64:
	s_waitcnt lgkmcnt(0)
	v_add_co_u32_e32 v0, vcc, 0x7000, v28
	s_nop 1
	v_addc_co_u32_e32 v1, vcc, 0, v29, vcc
	global_store_dwordx2 v[0:1], v[2:3], off
	s_endpgm
	.section	.rodata,"a",@progbits
	.p2align	6, 0x0
	.amdhsa_kernel _ZN7rocprim17ROCPRIM_304000_NS6detail18single_scan_kernelILb1ENS1_19wrapped_scan_configINS0_14default_configElEEN6hipcub22TransformInputIteratorIbN2at4cuda3cub12_GLOBAL__N_111CountMaskOpEPKhlEEPlNSB_5SumOpIlEEllEEvT1_mT4_T2_T3_
		.amdhsa_group_segment_fixed_size 30720
		.amdhsa_private_segment_fixed_size 0
		.amdhsa_kernarg_size 44
		.amdhsa_user_sgpr_count 2
		.amdhsa_user_sgpr_dispatch_ptr 0
		.amdhsa_user_sgpr_queue_ptr 0
		.amdhsa_user_sgpr_kernarg_segment_ptr 1
		.amdhsa_user_sgpr_dispatch_id 0
		.amdhsa_user_sgpr_kernarg_preload_length 0
		.amdhsa_user_sgpr_kernarg_preload_offset 0
		.amdhsa_user_sgpr_private_segment_size 0
		.amdhsa_uses_dynamic_stack 0
		.amdhsa_enable_private_segment 0
		.amdhsa_system_sgpr_workgroup_id_x 1
		.amdhsa_system_sgpr_workgroup_id_y 0
		.amdhsa_system_sgpr_workgroup_id_z 0
		.amdhsa_system_sgpr_workgroup_info 0
		.amdhsa_system_vgpr_workitem_id 0
		.amdhsa_next_free_vgpr 52
		.amdhsa_next_free_sgpr 40
		.amdhsa_accum_offset 52
		.amdhsa_reserve_vcc 1
		.amdhsa_float_round_mode_32 0
		.amdhsa_float_round_mode_16_64 0
		.amdhsa_float_denorm_mode_32 3
		.amdhsa_float_denorm_mode_16_64 3
		.amdhsa_dx10_clamp 1
		.amdhsa_ieee_mode 1
		.amdhsa_fp16_overflow 0
		.amdhsa_tg_split 0
		.amdhsa_exception_fp_ieee_invalid_op 0
		.amdhsa_exception_fp_denorm_src 0
		.amdhsa_exception_fp_ieee_div_zero 0
		.amdhsa_exception_fp_ieee_overflow 0
		.amdhsa_exception_fp_ieee_underflow 0
		.amdhsa_exception_fp_ieee_inexact 0
		.amdhsa_exception_int_div_zero 0
	.end_amdhsa_kernel
	.section	.text._ZN7rocprim17ROCPRIM_304000_NS6detail18single_scan_kernelILb1ENS1_19wrapped_scan_configINS0_14default_configElEEN6hipcub22TransformInputIteratorIbN2at4cuda3cub12_GLOBAL__N_111CountMaskOpEPKhlEEPlNSB_5SumOpIlEEllEEvT1_mT4_T2_T3_,"axG",@progbits,_ZN7rocprim17ROCPRIM_304000_NS6detail18single_scan_kernelILb1ENS1_19wrapped_scan_configINS0_14default_configElEEN6hipcub22TransformInputIteratorIbN2at4cuda3cub12_GLOBAL__N_111CountMaskOpEPKhlEEPlNSB_5SumOpIlEEllEEvT1_mT4_T2_T3_,comdat
.Lfunc_end23:
	.size	_ZN7rocprim17ROCPRIM_304000_NS6detail18single_scan_kernelILb1ENS1_19wrapped_scan_configINS0_14default_configElEEN6hipcub22TransformInputIteratorIbN2at4cuda3cub12_GLOBAL__N_111CountMaskOpEPKhlEEPlNSB_5SumOpIlEEllEEvT1_mT4_T2_T3_, .Lfunc_end23-_ZN7rocprim17ROCPRIM_304000_NS6detail18single_scan_kernelILb1ENS1_19wrapped_scan_configINS0_14default_configElEEN6hipcub22TransformInputIteratorIbN2at4cuda3cub12_GLOBAL__N_111CountMaskOpEPKhlEEPlNSB_5SumOpIlEEllEEvT1_mT4_T2_T3_
                                        ; -- End function
	.section	.AMDGPU.csdata,"",@progbits
; Kernel info:
; codeLenInByte = 3400
; NumSgprs: 46
; NumVgprs: 52
; NumAgprs: 0
; TotalNumVgprs: 52
; ScratchSize: 0
; MemoryBound: 0
; FloatMode: 240
; IeeeMode: 1
; LDSByteSize: 30720 bytes/workgroup (compile time only)
; SGPRBlocks: 5
; VGPRBlocks: 6
; NumSGPRsForWavesPerEU: 46
; NumVGPRsForWavesPerEU: 52
; AccumOffset: 52
; Occupancy: 2
; WaveLimiterHint : 0
; COMPUTE_PGM_RSRC2:SCRATCH_EN: 0
; COMPUTE_PGM_RSRC2:USER_SGPR: 2
; COMPUTE_PGM_RSRC2:TRAP_HANDLER: 0
; COMPUTE_PGM_RSRC2:TGID_X_EN: 1
; COMPUTE_PGM_RSRC2:TGID_Y_EN: 0
; COMPUTE_PGM_RSRC2:TGID_Z_EN: 0
; COMPUTE_PGM_RSRC2:TIDIG_COMP_CNT: 0
; COMPUTE_PGM_RSRC3_GFX90A:ACCUM_OFFSET: 12
; COMPUTE_PGM_RSRC3_GFX90A:TG_SPLIT: 0
	.text
	.p2alignl 6, 3212836864
	.fill 256, 4, 3212836864
	.type	__hip_cuid_b4e4e8685ec040e,@object ; @__hip_cuid_b4e4e8685ec040e
	.section	.bss,"aw",@nobits
	.globl	__hip_cuid_b4e4e8685ec040e
__hip_cuid_b4e4e8685ec040e:
	.byte	0                               ; 0x0
	.size	__hip_cuid_b4e4e8685ec040e, 1

	.ident	"AMD clang version 19.0.0git (https://github.com/RadeonOpenCompute/llvm-project roc-6.4.0 25133 c7fe45cf4b819c5991fe208aaa96edf142730f1d)"
	.section	".note.GNU-stack","",@progbits
	.addrsig
	.addrsig_sym __hip_cuid_b4e4e8685ec040e
	.amdgpu_metadata
---
amdhsa.kernels:
  - .agpr_count:     0
    .args:
      - .address_space:  global
        .offset:         0
        .size:           8
        .value_kind:     global_buffer
      - .offset:         8
        .size:           4
        .value_kind:     by_value
      - .offset:         12
        .size:           4
        .value_kind:     by_value
      - .address_space:  global
        .offset:         16
        .size:           8
        .value_kind:     global_buffer
      - .offset:         24
        .size:           4
        .value_kind:     hidden_block_count_x
      - .offset:         28
        .size:           4
        .value_kind:     hidden_block_count_y
      - .offset:         32
        .size:           4
        .value_kind:     hidden_block_count_z
      - .offset:         36
        .size:           2
        .value_kind:     hidden_group_size_x
      - .offset:         38
        .size:           2
        .value_kind:     hidden_group_size_y
      - .offset:         40
        .size:           2
        .value_kind:     hidden_group_size_z
      - .offset:         42
        .size:           2
        .value_kind:     hidden_remainder_x
      - .offset:         44
        .size:           2
        .value_kind:     hidden_remainder_y
      - .offset:         46
        .size:           2
        .value_kind:     hidden_remainder_z
      - .offset:         64
        .size:           8
        .value_kind:     hidden_global_offset_x
      - .offset:         72
        .size:           8
        .value_kind:     hidden_global_offset_y
      - .offset:         80
        .size:           8
        .value_kind:     hidden_global_offset_z
      - .offset:         88
        .size:           2
        .value_kind:     hidden_grid_dims
    .group_segment_fixed_size: 0
    .kernarg_segment_align: 8
    .kernarg_segment_size: 280
    .language:       OpenCL C
    .language_version:
      - 2
      - 0
    .max_flat_workgroup_size: 256
    .name:           _ZN7rocprim17ROCPRIM_304000_NS6detail31init_lookback_scan_state_kernelINS1_19lookback_scan_stateIiLb1ELb1EEEEEvT_jjPNS5_10value_typeE
    .private_segment_fixed_size: 0
    .sgpr_count:     18
    .sgpr_spill_count: 0
    .symbol:         _ZN7rocprim17ROCPRIM_304000_NS6detail31init_lookback_scan_state_kernelINS1_19lookback_scan_stateIiLb1ELb1EEEEEvT_jjPNS5_10value_typeE.kd
    .uniform_work_group_size: 1
    .uses_dynamic_stack: false
    .vgpr_count:     6
    .vgpr_spill_count: 0
    .wavefront_size: 64
  - .agpr_count:     0
    .args:
      - .address_space:  global
        .offset:         0
        .size:           8
        .value_kind:     global_buffer
      - .offset:         8
        .size:           4
        .value_kind:     by_value
      - .offset:         12
        .size:           4
        .value_kind:     by_value
      - .address_space:  global
        .offset:         16
        .size:           8
        .value_kind:     global_buffer
      - .offset:         24
        .size:           4
        .value_kind:     hidden_block_count_x
      - .offset:         28
        .size:           4
        .value_kind:     hidden_block_count_y
      - .offset:         32
        .size:           4
        .value_kind:     hidden_block_count_z
      - .offset:         36
        .size:           2
        .value_kind:     hidden_group_size_x
      - .offset:         38
        .size:           2
        .value_kind:     hidden_group_size_y
      - .offset:         40
        .size:           2
        .value_kind:     hidden_group_size_z
      - .offset:         42
        .size:           2
        .value_kind:     hidden_remainder_x
      - .offset:         44
        .size:           2
        .value_kind:     hidden_remainder_y
      - .offset:         46
        .size:           2
        .value_kind:     hidden_remainder_z
      - .offset:         64
        .size:           8
        .value_kind:     hidden_global_offset_x
      - .offset:         72
        .size:           8
        .value_kind:     hidden_global_offset_y
      - .offset:         80
        .size:           8
        .value_kind:     hidden_global_offset_z
      - .offset:         88
        .size:           2
        .value_kind:     hidden_grid_dims
    .group_segment_fixed_size: 0
    .kernarg_segment_align: 8
    .kernarg_segment_size: 280
    .language:       OpenCL C
    .language_version:
      - 2
      - 0
    .max_flat_workgroup_size: 256
    .name:           _ZN7rocprim17ROCPRIM_304000_NS6detail31init_lookback_scan_state_kernelINS1_19lookback_scan_stateIiLb0ELb1EEEEEvT_jjPNS5_10value_typeE
    .private_segment_fixed_size: 0
    .sgpr_count:     16
    .sgpr_spill_count: 0
    .symbol:         _ZN7rocprim17ROCPRIM_304000_NS6detail31init_lookback_scan_state_kernelINS1_19lookback_scan_stateIiLb0ELb1EEEEEvT_jjPNS5_10value_typeE.kd
    .uniform_work_group_size: 1
    .uses_dynamic_stack: false
    .vgpr_count:     6
    .vgpr_spill_count: 0
    .wavefront_size: 64
  - .agpr_count:     0
    .args:
      - .address_space:  global
        .offset:         0
        .size:           8
        .value_kind:     global_buffer
      - .address_space:  global
        .offset:         8
        .size:           8
        .value_kind:     global_buffer
      - .offset:         16
        .size:           8
        .value_kind:     by_value
      - .offset:         24
        .size:           4
        .value_kind:     by_value
      - .offset:         28
        .size:           1
        .value_kind:     by_value
      - .address_space:  global
        .offset:         32
        .size:           8
        .value_kind:     global_buffer
      - .offset:         40
        .size:           4
        .value_kind:     by_value
      - .address_space:  global
        .offset:         48
        .size:           8
        .value_kind:     global_buffer
      - .address_space:  global
        .offset:         56
        .size:           8
        .value_kind:     global_buffer
      - .offset:         64
        .size:           1
        .value_kind:     by_value
      - .offset:         65
        .size:           1
        .value_kind:     by_value
    .group_segment_fixed_size: 0
    .kernarg_segment_align: 8
    .kernarg_segment_size: 68
    .language:       OpenCL C
    .language_version:
      - 2
      - 0
    .max_flat_workgroup_size: 256
    .name:           _ZN7rocprim17ROCPRIM_304000_NS6detail20lookback_scan_kernelILNS1_25lookback_scan_determinismE0ELb0ENS1_19wrapped_scan_configINS0_14default_configEiEEPKiPiSt4plusIvEiiNS1_19lookback_scan_stateIiLb1ELb1EEEEEvT2_T3_mT5_T4_T7_jPT6_SK_bb
    .private_segment_fixed_size: 0
    .sgpr_count:     6
    .sgpr_spill_count: 0
    .symbol:         _ZN7rocprim17ROCPRIM_304000_NS6detail20lookback_scan_kernelILNS1_25lookback_scan_determinismE0ELb0ENS1_19wrapped_scan_configINS0_14default_configEiEEPKiPiSt4plusIvEiiNS1_19lookback_scan_stateIiLb1ELb1EEEEEvT2_T3_mT5_T4_T7_jPT6_SK_bb.kd
    .uniform_work_group_size: 1
    .uses_dynamic_stack: false
    .vgpr_count:     0
    .vgpr_spill_count: 0
    .wavefront_size: 64
  - .agpr_count:     0
    .args:
      - .address_space:  global
        .offset:         0
        .size:           8
        .value_kind:     global_buffer
      - .address_space:  global
        .offset:         8
        .size:           8
        .value_kind:     global_buffer
      - .offset:         16
        .size:           8
        .value_kind:     by_value
      - .offset:         24
        .size:           4
        .value_kind:     by_value
      - .offset:         28
        .size:           1
        .value_kind:     by_value
      - .address_space:  global
        .offset:         32
        .size:           8
        .value_kind:     global_buffer
      - .offset:         40
        .size:           4
        .value_kind:     by_value
      - .address_space:  global
        .offset:         48
        .size:           8
        .value_kind:     global_buffer
      - .address_space:  global
        .offset:         56
        .size:           8
        .value_kind:     global_buffer
      - .offset:         64
        .size:           1
        .value_kind:     by_value
      - .offset:         65
        .size:           1
        .value_kind:     by_value
    .group_segment_fixed_size: 21504
    .kernarg_segment_align: 8
    .kernarg_segment_size: 68
    .language:       OpenCL C
    .language_version:
      - 2
      - 0
    .max_flat_workgroup_size: 256
    .name:           _ZN7rocprim17ROCPRIM_304000_NS6detail20lookback_scan_kernelILNS1_25lookback_scan_determinismE0ELb0ENS1_19wrapped_scan_configINS0_14default_configEiEEPKiPiSt4plusIvEiiNS1_19lookback_scan_stateIiLb0ELb1EEEEEvT2_T3_mT5_T4_T7_jPT6_SK_bb
    .private_segment_fixed_size: 0
    .sgpr_count:     30
    .sgpr_spill_count: 0
    .symbol:         _ZN7rocprim17ROCPRIM_304000_NS6detail20lookback_scan_kernelILNS1_25lookback_scan_determinismE0ELb0ENS1_19wrapped_scan_configINS0_14default_configEiEEPKiPiSt4plusIvEiiNS1_19lookback_scan_stateIiLb0ELb1EEEEEvT2_T3_mT5_T4_T7_jPT6_SK_bb.kd
    .uniform_work_group_size: 1
    .uses_dynamic_stack: false
    .vgpr_count:     53
    .vgpr_spill_count: 0
    .wavefront_size: 64
  - .agpr_count:     0
    .args:
      - .address_space:  global
        .offset:         0
        .size:           8
        .value_kind:     global_buffer
      - .offset:         8
        .size:           8
        .value_kind:     by_value
      - .address_space:  global
        .offset:         16
        .size:           8
        .value_kind:     global_buffer
      - .offset:         24
        .size:           1
        .value_kind:     by_value
      - .offset:         32
        .size:           4
        .value_kind:     hidden_block_count_x
      - .offset:         36
        .size:           4
        .value_kind:     hidden_block_count_y
      - .offset:         40
        .size:           4
        .value_kind:     hidden_block_count_z
      - .offset:         44
        .size:           2
        .value_kind:     hidden_group_size_x
      - .offset:         46
        .size:           2
        .value_kind:     hidden_group_size_y
      - .offset:         48
        .size:           2
        .value_kind:     hidden_group_size_z
      - .offset:         50
        .size:           2
        .value_kind:     hidden_remainder_x
      - .offset:         52
        .size:           2
        .value_kind:     hidden_remainder_y
      - .offset:         54
        .size:           2
        .value_kind:     hidden_remainder_z
      - .offset:         72
        .size:           8
        .value_kind:     hidden_global_offset_x
      - .offset:         80
        .size:           8
        .value_kind:     hidden_global_offset_y
      - .offset:         88
        .size:           8
        .value_kind:     hidden_global_offset_z
      - .offset:         96
        .size:           2
        .value_kind:     hidden_grid_dims
    .group_segment_fixed_size: 0
    .kernarg_segment_align: 8
    .kernarg_segment_size: 288
    .language:       OpenCL C
    .language_version:
      - 2
      - 0
    .max_flat_workgroup_size: 256
    .name:           _ZN7rocprim17ROCPRIM_304000_NS6detail16transform_kernelINS1_24wrapped_transform_configINS0_14default_configEiEEiPiS6_NS0_8identityIiEEEEvT1_mT2_T3_
    .private_segment_fixed_size: 0
    .sgpr_count:     20
    .sgpr_spill_count: 0
    .symbol:         _ZN7rocprim17ROCPRIM_304000_NS6detail16transform_kernelINS1_24wrapped_transform_configINS0_14default_configEiEEiPiS6_NS0_8identityIiEEEEvT1_mT2_T3_.kd
    .uniform_work_group_size: 1
    .uses_dynamic_stack: false
    .vgpr_count:     10
    .vgpr_spill_count: 0
    .wavefront_size: 64
  - .agpr_count:     0
    .args:
      - .address_space:  global
        .offset:         0
        .size:           8
        .value_kind:     global_buffer
      - .offset:         8
        .size:           8
        .value_kind:     by_value
      - .offset:         16
        .size:           4
        .value_kind:     by_value
      - .address_space:  global
        .offset:         24
        .size:           8
        .value_kind:     global_buffer
      - .offset:         32
        .size:           1
        .value_kind:     by_value
    .group_segment_fixed_size: 21504
    .kernarg_segment_align: 8
    .kernarg_segment_size: 36
    .language:       OpenCL C
    .language_version:
      - 2
      - 0
    .max_flat_workgroup_size: 256
    .name:           _ZN7rocprim17ROCPRIM_304000_NS6detail18single_scan_kernelILb0ENS1_19wrapped_scan_configINS0_14default_configEiEEPKiPiSt4plusIvEiiEEvT1_mT4_T2_T3_
    .private_segment_fixed_size: 0
    .sgpr_count:     54
    .sgpr_spill_count: 0
    .symbol:         _ZN7rocprim17ROCPRIM_304000_NS6detail18single_scan_kernelILb0ENS1_19wrapped_scan_configINS0_14default_configEiEEPKiPiSt4plusIvEiiEEvT1_mT4_T2_T3_.kd
    .uniform_work_group_size: 1
    .uses_dynamic_stack: false
    .vgpr_count:     29
    .vgpr_spill_count: 0
    .wavefront_size: 64
  - .agpr_count:     0
    .args:
      - .address_space:  global
        .offset:         0
        .size:           8
        .value_kind:     global_buffer
      - .offset:         8
        .size:           4
        .value_kind:     by_value
      - .offset:         12
        .size:           4
        .value_kind:     by_value
      - .address_space:  global
        .offset:         16
        .size:           8
        .value_kind:     global_buffer
      - .offset:         24
        .size:           4
        .value_kind:     hidden_block_count_x
      - .offset:         28
        .size:           4
        .value_kind:     hidden_block_count_y
      - .offset:         32
        .size:           4
        .value_kind:     hidden_block_count_z
      - .offset:         36
        .size:           2
        .value_kind:     hidden_group_size_x
      - .offset:         38
        .size:           2
        .value_kind:     hidden_group_size_y
      - .offset:         40
        .size:           2
        .value_kind:     hidden_group_size_z
      - .offset:         42
        .size:           2
        .value_kind:     hidden_remainder_x
      - .offset:         44
        .size:           2
        .value_kind:     hidden_remainder_y
      - .offset:         46
        .size:           2
        .value_kind:     hidden_remainder_z
      - .offset:         64
        .size:           8
        .value_kind:     hidden_global_offset_x
      - .offset:         72
        .size:           8
        .value_kind:     hidden_global_offset_y
      - .offset:         80
        .size:           8
        .value_kind:     hidden_global_offset_z
      - .offset:         88
        .size:           2
        .value_kind:     hidden_grid_dims
    .group_segment_fixed_size: 0
    .kernarg_segment_align: 8
    .kernarg_segment_size: 280
    .language:       OpenCL C
    .language_version:
      - 2
      - 0
    .max_flat_workgroup_size: 256
    .name:           _ZN7rocprim17ROCPRIM_304000_NS6detail31init_lookback_scan_state_kernelINS1_19lookback_scan_stateIlLb1ELb1EEEEEvT_jjPNS5_10value_typeE
    .private_segment_fixed_size: 0
    .sgpr_count:     20
    .sgpr_spill_count: 0
    .symbol:         _ZN7rocprim17ROCPRIM_304000_NS6detail31init_lookback_scan_state_kernelINS1_19lookback_scan_stateIlLb1ELb1EEEEEvT_jjPNS5_10value_typeE.kd
    .uniform_work_group_size: 1
    .uses_dynamic_stack: false
    .vgpr_count:     10
    .vgpr_spill_count: 0
    .wavefront_size: 64
  - .agpr_count:     0
    .args:
      - .address_space:  global
        .offset:         0
        .size:           8
        .value_kind:     global_buffer
      - .offset:         8
        .size:           4
        .value_kind:     by_value
      - .offset:         12
        .size:           4
        .value_kind:     by_value
      - .address_space:  global
        .offset:         16
        .size:           8
        .value_kind:     global_buffer
      - .offset:         24
        .size:           4
        .value_kind:     hidden_block_count_x
      - .offset:         28
        .size:           4
        .value_kind:     hidden_block_count_y
      - .offset:         32
        .size:           4
        .value_kind:     hidden_block_count_z
      - .offset:         36
        .size:           2
        .value_kind:     hidden_group_size_x
      - .offset:         38
        .size:           2
        .value_kind:     hidden_group_size_y
      - .offset:         40
        .size:           2
        .value_kind:     hidden_group_size_z
      - .offset:         42
        .size:           2
        .value_kind:     hidden_remainder_x
      - .offset:         44
        .size:           2
        .value_kind:     hidden_remainder_y
      - .offset:         46
        .size:           2
        .value_kind:     hidden_remainder_z
      - .offset:         64
        .size:           8
        .value_kind:     hidden_global_offset_x
      - .offset:         72
        .size:           8
        .value_kind:     hidden_global_offset_y
      - .offset:         80
        .size:           8
        .value_kind:     hidden_global_offset_z
      - .offset:         88
        .size:           2
        .value_kind:     hidden_grid_dims
    .group_segment_fixed_size: 0
    .kernarg_segment_align: 8
    .kernarg_segment_size: 280
    .language:       OpenCL C
    .language_version:
      - 2
      - 0
    .max_flat_workgroup_size: 256
    .name:           _ZN7rocprim17ROCPRIM_304000_NS6detail31init_lookback_scan_state_kernelINS1_19lookback_scan_stateIlLb0ELb1EEEEEvT_jjPNS5_10value_typeE
    .private_segment_fixed_size: 0
    .sgpr_count:     20
    .sgpr_spill_count: 0
    .symbol:         _ZN7rocprim17ROCPRIM_304000_NS6detail31init_lookback_scan_state_kernelINS1_19lookback_scan_stateIlLb0ELb1EEEEEvT_jjPNS5_10value_typeE.kd
    .uniform_work_group_size: 1
    .uses_dynamic_stack: false
    .vgpr_count:     10
    .vgpr_spill_count: 0
    .wavefront_size: 64
  - .agpr_count:     0
    .args:
      - .address_space:  global
        .offset:         0
        .size:           8
        .value_kind:     global_buffer
      - .address_space:  global
        .offset:         8
        .size:           8
        .value_kind:     global_buffer
      - .offset:         16
        .size:           8
        .value_kind:     by_value
      - .offset:         24
        .size:           8
        .value_kind:     by_value
      - .offset:         32
        .size:           1
        .value_kind:     by_value
      - .address_space:  global
        .offset:         40
        .size:           8
        .value_kind:     global_buffer
      - .offset:         48
        .size:           4
        .value_kind:     by_value
      - .address_space:  global
        .offset:         56
        .size:           8
        .value_kind:     global_buffer
      - .address_space:  global
        .offset:         64
        .size:           8
        .value_kind:     global_buffer
      - .offset:         72
        .size:           1
        .value_kind:     by_value
      - .offset:         73
        .size:           1
        .value_kind:     by_value
    .group_segment_fixed_size: 0
    .kernarg_segment_align: 8
    .kernarg_segment_size: 76
    .language:       OpenCL C
    .language_version:
      - 2
      - 0
    .max_flat_workgroup_size: 256
    .name:           _ZN7rocprim17ROCPRIM_304000_NS6detail20lookback_scan_kernelILNS1_25lookback_scan_determinismE0ELb0ENS1_19wrapped_scan_configINS0_14default_configElEEPKlPlSt4plusIvEllNS1_19lookback_scan_stateIlLb1ELb1EEEEEvT2_T3_mT5_T4_T7_jPT6_SK_bb
    .private_segment_fixed_size: 0
    .sgpr_count:     6
    .sgpr_spill_count: 0
    .symbol:         _ZN7rocprim17ROCPRIM_304000_NS6detail20lookback_scan_kernelILNS1_25lookback_scan_determinismE0ELb0ENS1_19wrapped_scan_configINS0_14default_configElEEPKlPlSt4plusIvEllNS1_19lookback_scan_stateIlLb1ELb1EEEEEvT2_T3_mT5_T4_T7_jPT6_SK_bb.kd
    .uniform_work_group_size: 1
    .uses_dynamic_stack: false
    .vgpr_count:     0
    .vgpr_spill_count: 0
    .wavefront_size: 64
  - .agpr_count:     0
    .args:
      - .address_space:  global
        .offset:         0
        .size:           8
        .value_kind:     global_buffer
      - .address_space:  global
        .offset:         8
        .size:           8
        .value_kind:     global_buffer
      - .offset:         16
        .size:           8
        .value_kind:     by_value
      - .offset:         24
        .size:           8
        .value_kind:     by_value
      - .offset:         32
        .size:           1
        .value_kind:     by_value
      - .address_space:  global
        .offset:         40
        .size:           8
        .value_kind:     global_buffer
      - .offset:         48
        .size:           4
        .value_kind:     by_value
      - .address_space:  global
        .offset:         56
        .size:           8
        .value_kind:     global_buffer
      - .address_space:  global
        .offset:         64
        .size:           8
        .value_kind:     global_buffer
      - .offset:         72
        .size:           1
        .value_kind:     by_value
      - .offset:         73
        .size:           1
        .value_kind:     by_value
    .group_segment_fixed_size: 30720
    .kernarg_segment_align: 8
    .kernarg_segment_size: 76
    .language:       OpenCL C
    .language_version:
      - 2
      - 0
    .max_flat_workgroup_size: 256
    .name:           _ZN7rocprim17ROCPRIM_304000_NS6detail20lookback_scan_kernelILNS1_25lookback_scan_determinismE0ELb0ENS1_19wrapped_scan_configINS0_14default_configElEEPKlPlSt4plusIvEllNS1_19lookback_scan_stateIlLb0ELb1EEEEEvT2_T3_mT5_T4_T7_jPT6_SK_bb
    .private_segment_fixed_size: 0
    .sgpr_count:     74
    .sgpr_spill_count: 0
    .symbol:         _ZN7rocprim17ROCPRIM_304000_NS6detail20lookback_scan_kernelILNS1_25lookback_scan_determinismE0ELb0ENS1_19wrapped_scan_configINS0_14default_configElEEPKlPlSt4plusIvEllNS1_19lookback_scan_stateIlLb0ELb1EEEEEvT2_T3_mT5_T4_T7_jPT6_SK_bb.kd
    .uniform_work_group_size: 1
    .uses_dynamic_stack: false
    .vgpr_count:     70
    .vgpr_spill_count: 0
    .wavefront_size: 64
  - .agpr_count:     0
    .args:
      - .address_space:  global
        .offset:         0
        .size:           8
        .value_kind:     global_buffer
      - .offset:         8
        .size:           8
        .value_kind:     by_value
      - .address_space:  global
        .offset:         16
        .size:           8
        .value_kind:     global_buffer
      - .offset:         24
        .size:           1
        .value_kind:     by_value
      - .offset:         32
        .size:           4
        .value_kind:     hidden_block_count_x
      - .offset:         36
        .size:           4
        .value_kind:     hidden_block_count_y
      - .offset:         40
        .size:           4
        .value_kind:     hidden_block_count_z
      - .offset:         44
        .size:           2
        .value_kind:     hidden_group_size_x
      - .offset:         46
        .size:           2
        .value_kind:     hidden_group_size_y
      - .offset:         48
        .size:           2
        .value_kind:     hidden_group_size_z
      - .offset:         50
        .size:           2
        .value_kind:     hidden_remainder_x
      - .offset:         52
        .size:           2
        .value_kind:     hidden_remainder_y
      - .offset:         54
        .size:           2
        .value_kind:     hidden_remainder_z
      - .offset:         72
        .size:           8
        .value_kind:     hidden_global_offset_x
      - .offset:         80
        .size:           8
        .value_kind:     hidden_global_offset_y
      - .offset:         88
        .size:           8
        .value_kind:     hidden_global_offset_z
      - .offset:         96
        .size:           2
        .value_kind:     hidden_grid_dims
    .group_segment_fixed_size: 0
    .kernarg_segment_align: 8
    .kernarg_segment_size: 288
    .language:       OpenCL C
    .language_version:
      - 2
      - 0
    .max_flat_workgroup_size: 256
    .name:           _ZN7rocprim17ROCPRIM_304000_NS6detail16transform_kernelINS1_24wrapped_transform_configINS0_14default_configElEElPlS6_NS0_8identityIlEEEEvT1_mT2_T3_
    .private_segment_fixed_size: 0
    .sgpr_count:     18
    .sgpr_spill_count: 0
    .symbol:         _ZN7rocprim17ROCPRIM_304000_NS6detail16transform_kernelINS1_24wrapped_transform_configINS0_14default_configElEElPlS6_NS0_8identityIlEEEEvT1_mT2_T3_.kd
    .uniform_work_group_size: 1
    .uses_dynamic_stack: false
    .vgpr_count:     10
    .vgpr_spill_count: 0
    .wavefront_size: 64
  - .agpr_count:     0
    .args:
      - .address_space:  global
        .offset:         0
        .size:           8
        .value_kind:     global_buffer
      - .offset:         8
        .size:           8
        .value_kind:     by_value
      - .offset:         16
        .size:           8
        .value_kind:     by_value
      - .address_space:  global
        .offset:         24
        .size:           8
        .value_kind:     global_buffer
      - .offset:         32
        .size:           1
        .value_kind:     by_value
    .group_segment_fixed_size: 30720
    .kernarg_segment_align: 8
    .kernarg_segment_size: 36
    .language:       OpenCL C
    .language_version:
      - 2
      - 0
    .max_flat_workgroup_size: 256
    .name:           _ZN7rocprim17ROCPRIM_304000_NS6detail18single_scan_kernelILb0ENS1_19wrapped_scan_configINS0_14default_configElEEPKlPlSt4plusIvEllEEvT1_mT4_T2_T3_
    .private_segment_fixed_size: 0
    .sgpr_count:     74
    .sgpr_spill_count: 0
    .symbol:         _ZN7rocprim17ROCPRIM_304000_NS6detail18single_scan_kernelILb0ENS1_19wrapped_scan_configINS0_14default_configElEEPKlPlSt4plusIvEllEEvT1_mT4_T2_T3_.kd
    .uniform_work_group_size: 1
    .uses_dynamic_stack: false
    .vgpr_count:     54
    .vgpr_spill_count: 0
    .wavefront_size: 64
  - .agpr_count:     0
    .args:
      - .address_space:  global
        .offset:         0
        .size:           8
        .value_kind:     global_buffer
      - .address_space:  global
        .offset:         8
        .size:           8
        .value_kind:     global_buffer
      - .offset:         16
        .size:           8
        .value_kind:     by_value
      - .offset:         24
        .size:           4
        .value_kind:     by_value
      - .offset:         28
        .size:           1
        .value_kind:     by_value
      - .address_space:  global
        .offset:         32
        .size:           8
        .value_kind:     global_buffer
      - .offset:         40
        .size:           4
        .value_kind:     by_value
      - .address_space:  global
        .offset:         48
        .size:           8
        .value_kind:     global_buffer
      - .address_space:  global
        .offset:         56
        .size:           8
        .value_kind:     global_buffer
      - .offset:         64
        .size:           1
        .value_kind:     by_value
      - .offset:         65
        .size:           1
        .value_kind:     by_value
    .group_segment_fixed_size: 0
    .kernarg_segment_align: 8
    .kernarg_segment_size: 68
    .language:       OpenCL C
    .language_version:
      - 2
      - 0
    .max_flat_workgroup_size: 256
    .name:           _ZN7rocprim17ROCPRIM_304000_NS6detail20lookback_scan_kernelILNS1_25lookback_scan_determinismE0ELb0ENS1_19wrapped_scan_configINS0_14default_configEiEEPKiPlSt4plusIvEiiNS1_19lookback_scan_stateIiLb1ELb1EEEEEvT2_T3_mT5_T4_T7_jPT6_SK_bb
    .private_segment_fixed_size: 0
    .sgpr_count:     6
    .sgpr_spill_count: 0
    .symbol:         _ZN7rocprim17ROCPRIM_304000_NS6detail20lookback_scan_kernelILNS1_25lookback_scan_determinismE0ELb0ENS1_19wrapped_scan_configINS0_14default_configEiEEPKiPlSt4plusIvEiiNS1_19lookback_scan_stateIiLb1ELb1EEEEEvT2_T3_mT5_T4_T7_jPT6_SK_bb.kd
    .uniform_work_group_size: 1
    .uses_dynamic_stack: false
    .vgpr_count:     0
    .vgpr_spill_count: 0
    .wavefront_size: 64
  - .agpr_count:     0
    .args:
      - .address_space:  global
        .offset:         0
        .size:           8
        .value_kind:     global_buffer
      - .address_space:  global
        .offset:         8
        .size:           8
        .value_kind:     global_buffer
      - .offset:         16
        .size:           8
        .value_kind:     by_value
      - .offset:         24
        .size:           4
        .value_kind:     by_value
      - .offset:         28
        .size:           1
        .value_kind:     by_value
      - .address_space:  global
        .offset:         32
        .size:           8
        .value_kind:     global_buffer
      - .offset:         40
        .size:           4
        .value_kind:     by_value
      - .address_space:  global
        .offset:         48
        .size:           8
        .value_kind:     global_buffer
      - .address_space:  global
        .offset:         56
        .size:           8
        .value_kind:     global_buffer
      - .offset:         64
        .size:           1
        .value_kind:     by_value
      - .offset:         65
        .size:           1
        .value_kind:     by_value
    .group_segment_fixed_size: 21504
    .kernarg_segment_align: 8
    .kernarg_segment_size: 68
    .language:       OpenCL C
    .language_version:
      - 2
      - 0
    .max_flat_workgroup_size: 256
    .name:           _ZN7rocprim17ROCPRIM_304000_NS6detail20lookback_scan_kernelILNS1_25lookback_scan_determinismE0ELb0ENS1_19wrapped_scan_configINS0_14default_configEiEEPKiPlSt4plusIvEiiNS1_19lookback_scan_stateIiLb0ELb1EEEEEvT2_T3_mT5_T4_T7_jPT6_SK_bb
    .private_segment_fixed_size: 0
    .sgpr_count:     30
    .sgpr_spill_count: 0
    .symbol:         _ZN7rocprim17ROCPRIM_304000_NS6detail20lookback_scan_kernelILNS1_25lookback_scan_determinismE0ELb0ENS1_19wrapped_scan_configINS0_14default_configEiEEPKiPlSt4plusIvEiiNS1_19lookback_scan_stateIiLb0ELb1EEEEEvT2_T3_mT5_T4_T7_jPT6_SK_bb.kd
    .uniform_work_group_size: 1
    .uses_dynamic_stack: false
    .vgpr_count:     70
    .vgpr_spill_count: 0
    .wavefront_size: 64
  - .agpr_count:     0
    .args:
      - .address_space:  global
        .offset:         0
        .size:           8
        .value_kind:     global_buffer
      - .offset:         8
        .size:           8
        .value_kind:     by_value
      - .offset:         16
        .size:           4
        .value_kind:     by_value
      - .address_space:  global
        .offset:         24
        .size:           8
        .value_kind:     global_buffer
      - .offset:         32
        .size:           1
        .value_kind:     by_value
    .group_segment_fixed_size: 21504
    .kernarg_segment_align: 8
    .kernarg_segment_size: 36
    .language:       OpenCL C
    .language_version:
      - 2
      - 0
    .max_flat_workgroup_size: 256
    .name:           _ZN7rocprim17ROCPRIM_304000_NS6detail18single_scan_kernelILb0ENS1_19wrapped_scan_configINS0_14default_configEiEEPKiPlSt4plusIvEiiEEvT1_mT4_T2_T3_
    .private_segment_fixed_size: 0
    .sgpr_count:     54
    .sgpr_spill_count: 0
    .symbol:         _ZN7rocprim17ROCPRIM_304000_NS6detail18single_scan_kernelILb0ENS1_19wrapped_scan_configINS0_14default_configEiEEPKiPlSt4plusIvEiiEEvT1_mT4_T2_T3_.kd
    .uniform_work_group_size: 1
    .uses_dynamic_stack: false
    .vgpr_count:     29
    .vgpr_spill_count: 0
    .wavefront_size: 64
  - .agpr_count:     0
    .args:
      - .address_space:  global
        .offset:         0
        .size:           8
        .value_kind:     global_buffer
      - .address_space:  global
        .offset:         8
        .size:           8
        .value_kind:     global_buffer
      - .offset:         16
        .size:           8
        .value_kind:     by_value
      - .offset:         24
        .size:           4
        .value_kind:     by_value
      - .offset:         28
        .size:           1
        .value_kind:     by_value
      - .address_space:  global
        .offset:         32
        .size:           8
        .value_kind:     global_buffer
      - .offset:         40
        .size:           4
        .value_kind:     by_value
      - .address_space:  global
        .offset:         48
        .size:           8
        .value_kind:     global_buffer
      - .address_space:  global
        .offset:         56
        .size:           8
        .value_kind:     global_buffer
      - .offset:         64
        .size:           1
        .value_kind:     by_value
      - .offset:         65
        .size:           1
        .value_kind:     by_value
    .group_segment_fixed_size: 0
    .kernarg_segment_align: 8
    .kernarg_segment_size: 68
    .language:       OpenCL C
    .language_version:
      - 2
      - 0
    .max_flat_workgroup_size: 256
    .name:           _ZN7rocprim17ROCPRIM_304000_NS6detail20lookback_scan_kernelILNS1_25lookback_scan_determinismE0ELb1ENS1_19wrapped_scan_configINS0_14default_configEiEEPKiPiN2at4cuda3cub12_GLOBAL__N_15SumOpIiEEiiNS1_19lookback_scan_stateIiLb1ELb1EEEEEvT2_T3_mT5_T4_T7_jPT6_SO_bb
    .private_segment_fixed_size: 0
    .sgpr_count:     6
    .sgpr_spill_count: 0
    .symbol:         _ZN7rocprim17ROCPRIM_304000_NS6detail20lookback_scan_kernelILNS1_25lookback_scan_determinismE0ELb1ENS1_19wrapped_scan_configINS0_14default_configEiEEPKiPiN2at4cuda3cub12_GLOBAL__N_15SumOpIiEEiiNS1_19lookback_scan_stateIiLb1ELb1EEEEEvT2_T3_mT5_T4_T7_jPT6_SO_bb.kd
    .uniform_work_group_size: 1
    .uses_dynamic_stack: false
    .vgpr_count:     0
    .vgpr_spill_count: 0
    .wavefront_size: 64
  - .agpr_count:     0
    .args:
      - .address_space:  global
        .offset:         0
        .size:           8
        .value_kind:     global_buffer
      - .address_space:  global
        .offset:         8
        .size:           8
        .value_kind:     global_buffer
      - .offset:         16
        .size:           8
        .value_kind:     by_value
      - .offset:         24
        .size:           4
        .value_kind:     by_value
      - .offset:         28
        .size:           1
        .value_kind:     by_value
      - .address_space:  global
        .offset:         32
        .size:           8
        .value_kind:     global_buffer
      - .offset:         40
        .size:           4
        .value_kind:     by_value
      - .address_space:  global
        .offset:         48
        .size:           8
        .value_kind:     global_buffer
      - .address_space:  global
        .offset:         56
        .size:           8
        .value_kind:     global_buffer
      - .offset:         64
        .size:           1
        .value_kind:     by_value
      - .offset:         65
        .size:           1
        .value_kind:     by_value
    .group_segment_fixed_size: 21504
    .kernarg_segment_align: 8
    .kernarg_segment_size: 68
    .language:       OpenCL C
    .language_version:
      - 2
      - 0
    .max_flat_workgroup_size: 256
    .name:           _ZN7rocprim17ROCPRIM_304000_NS6detail20lookback_scan_kernelILNS1_25lookback_scan_determinismE0ELb1ENS1_19wrapped_scan_configINS0_14default_configEiEEPKiPiN2at4cuda3cub12_GLOBAL__N_15SumOpIiEEiiNS1_19lookback_scan_stateIiLb0ELb1EEEEEvT2_T3_mT5_T4_T7_jPT6_SO_bb
    .private_segment_fixed_size: 0
    .sgpr_count:     32
    .sgpr_spill_count: 0
    .symbol:         _ZN7rocprim17ROCPRIM_304000_NS6detail20lookback_scan_kernelILNS1_25lookback_scan_determinismE0ELb1ENS1_19wrapped_scan_configINS0_14default_configEiEEPKiPiN2at4cuda3cub12_GLOBAL__N_15SumOpIiEEiiNS1_19lookback_scan_stateIiLb0ELb1EEEEEvT2_T3_mT5_T4_T7_jPT6_SO_bb.kd
    .uniform_work_group_size: 1
    .uses_dynamic_stack: false
    .vgpr_count:     54
    .vgpr_spill_count: 0
    .wavefront_size: 64
  - .agpr_count:     0
    .args:
      - .address_space:  global
        .offset:         0
        .size:           8
        .value_kind:     global_buffer
      - .offset:         8
        .size:           8
        .value_kind:     by_value
      - .offset:         16
        .size:           4
        .value_kind:     by_value
      - .address_space:  global
        .offset:         24
        .size:           8
        .value_kind:     global_buffer
      - .offset:         32
        .size:           1
        .value_kind:     by_value
    .group_segment_fixed_size: 21504
    .kernarg_segment_align: 8
    .kernarg_segment_size: 36
    .language:       OpenCL C
    .language_version:
      - 2
      - 0
    .max_flat_workgroup_size: 256
    .name:           _ZN7rocprim17ROCPRIM_304000_NS6detail18single_scan_kernelILb1ENS1_19wrapped_scan_configINS0_14default_configEiEEPKiPiN2at4cuda3cub12_GLOBAL__N_15SumOpIiEEiiEEvT1_mT4_T2_T3_
    .private_segment_fixed_size: 0
    .sgpr_count:     54
    .sgpr_spill_count: 0
    .symbol:         _ZN7rocprim17ROCPRIM_304000_NS6detail18single_scan_kernelILb1ENS1_19wrapped_scan_configINS0_14default_configEiEEPKiPiN2at4cuda3cub12_GLOBAL__N_15SumOpIiEEiiEEvT1_mT4_T2_T3_.kd
    .uniform_work_group_size: 1
    .uses_dynamic_stack: false
    .vgpr_count:     28
    .vgpr_spill_count: 0
    .wavefront_size: 64
  - .agpr_count:     0
    .args:
      - .address_space:  global
        .offset:         0
        .size:           8
        .value_kind:     global_buffer
      - .address_space:  global
        .offset:         8
        .size:           8
        .value_kind:     global_buffer
      - .offset:         16
        .size:           8
        .value_kind:     by_value
      - .offset:         24
        .size:           8
        .value_kind:     by_value
      - .offset:         32
        .size:           1
        .value_kind:     by_value
      - .address_space:  global
        .offset:         40
        .size:           8
        .value_kind:     global_buffer
      - .offset:         48
        .size:           4
        .value_kind:     by_value
      - .address_space:  global
        .offset:         56
        .size:           8
        .value_kind:     global_buffer
      - .address_space:  global
        .offset:         64
        .size:           8
        .value_kind:     global_buffer
      - .offset:         72
        .size:           1
        .value_kind:     by_value
      - .offset:         73
        .size:           1
        .value_kind:     by_value
    .group_segment_fixed_size: 0
    .kernarg_segment_align: 8
    .kernarg_segment_size: 76
    .language:       OpenCL C
    .language_version:
      - 2
      - 0
    .max_flat_workgroup_size: 256
    .name:           _ZN7rocprim17ROCPRIM_304000_NS6detail20lookback_scan_kernelILNS1_25lookback_scan_determinismE0ELb1ENS1_19wrapped_scan_configINS0_14default_configElEEPKlPlN2at4cuda3cub12_GLOBAL__N_15SumOpIlEEllNS1_19lookback_scan_stateIlLb1ELb1EEEEEvT2_T3_mT5_T4_T7_jPT6_SO_bb
    .private_segment_fixed_size: 0
    .sgpr_count:     6
    .sgpr_spill_count: 0
    .symbol:         _ZN7rocprim17ROCPRIM_304000_NS6detail20lookback_scan_kernelILNS1_25lookback_scan_determinismE0ELb1ENS1_19wrapped_scan_configINS0_14default_configElEEPKlPlN2at4cuda3cub12_GLOBAL__N_15SumOpIlEEllNS1_19lookback_scan_stateIlLb1ELb1EEEEEvT2_T3_mT5_T4_T7_jPT6_SO_bb.kd
    .uniform_work_group_size: 1
    .uses_dynamic_stack: false
    .vgpr_count:     0
    .vgpr_spill_count: 0
    .wavefront_size: 64
  - .agpr_count:     0
    .args:
      - .address_space:  global
        .offset:         0
        .size:           8
        .value_kind:     global_buffer
      - .address_space:  global
        .offset:         8
        .size:           8
        .value_kind:     global_buffer
      - .offset:         16
        .size:           8
        .value_kind:     by_value
      - .offset:         24
        .size:           8
        .value_kind:     by_value
      - .offset:         32
        .size:           1
        .value_kind:     by_value
      - .address_space:  global
        .offset:         40
        .size:           8
        .value_kind:     global_buffer
      - .offset:         48
        .size:           4
        .value_kind:     by_value
      - .address_space:  global
        .offset:         56
        .size:           8
        .value_kind:     global_buffer
      - .address_space:  global
        .offset:         64
        .size:           8
        .value_kind:     global_buffer
      - .offset:         72
        .size:           1
        .value_kind:     by_value
      - .offset:         73
        .size:           1
        .value_kind:     by_value
    .group_segment_fixed_size: 30720
    .kernarg_segment_align: 8
    .kernarg_segment_size: 76
    .language:       OpenCL C
    .language_version:
      - 2
      - 0
    .max_flat_workgroup_size: 256
    .name:           _ZN7rocprim17ROCPRIM_304000_NS6detail20lookback_scan_kernelILNS1_25lookback_scan_determinismE0ELb1ENS1_19wrapped_scan_configINS0_14default_configElEEPKlPlN2at4cuda3cub12_GLOBAL__N_15SumOpIlEEllNS1_19lookback_scan_stateIlLb0ELb1EEEEEvT2_T3_mT5_T4_T7_jPT6_SO_bb
    .private_segment_fixed_size: 0
    .sgpr_count:     74
    .sgpr_spill_count: 0
    .symbol:         _ZN7rocprim17ROCPRIM_304000_NS6detail20lookback_scan_kernelILNS1_25lookback_scan_determinismE0ELb1ENS1_19wrapped_scan_configINS0_14default_configElEEPKlPlN2at4cuda3cub12_GLOBAL__N_15SumOpIlEEllNS1_19lookback_scan_stateIlLb0ELb1EEEEEvT2_T3_mT5_T4_T7_jPT6_SO_bb.kd
    .uniform_work_group_size: 1
    .uses_dynamic_stack: false
    .vgpr_count:     72
    .vgpr_spill_count: 0
    .wavefront_size: 64
  - .agpr_count:     0
    .args:
      - .address_space:  global
        .offset:         0
        .size:           8
        .value_kind:     global_buffer
      - .offset:         8
        .size:           8
        .value_kind:     by_value
      - .offset:         16
        .size:           8
        .value_kind:     by_value
      - .address_space:  global
        .offset:         24
        .size:           8
        .value_kind:     global_buffer
      - .offset:         32
        .size:           1
        .value_kind:     by_value
    .group_segment_fixed_size: 30720
    .kernarg_segment_align: 8
    .kernarg_segment_size: 36
    .language:       OpenCL C
    .language_version:
      - 2
      - 0
    .max_flat_workgroup_size: 256
    .name:           _ZN7rocprim17ROCPRIM_304000_NS6detail18single_scan_kernelILb1ENS1_19wrapped_scan_configINS0_14default_configElEEPKlPlN2at4cuda3cub12_GLOBAL__N_15SumOpIlEEllEEvT1_mT4_T2_T3_
    .private_segment_fixed_size: 0
    .sgpr_count:     82
    .sgpr_spill_count: 0
    .symbol:         _ZN7rocprim17ROCPRIM_304000_NS6detail18single_scan_kernelILb1ENS1_19wrapped_scan_configINS0_14default_configElEEPKlPlN2at4cuda3cub12_GLOBAL__N_15SumOpIlEEllEEvT1_mT4_T2_T3_.kd
    .uniform_work_group_size: 1
    .uses_dynamic_stack: false
    .vgpr_count:     52
    .vgpr_spill_count: 0
    .wavefront_size: 64
  - .agpr_count:     0
    .args:
      - .offset:         0
        .size:           16
        .value_kind:     by_value
      - .address_space:  global
        .offset:         16
        .size:           8
        .value_kind:     global_buffer
      - .offset:         24
        .size:           8
        .value_kind:     by_value
      - .offset:         32
        .size:           8
        .value_kind:     by_value
      - .offset:         40
        .size:           1
        .value_kind:     by_value
      - .address_space:  global
        .offset:         48
        .size:           8
        .value_kind:     global_buffer
      - .offset:         56
        .size:           4
        .value_kind:     by_value
      - .address_space:  global
        .offset:         64
        .size:           8
        .value_kind:     global_buffer
      - .address_space:  global
        .offset:         72
        .size:           8
        .value_kind:     global_buffer
      - .offset:         80
        .size:           1
        .value_kind:     by_value
      - .offset:         81
        .size:           1
        .value_kind:     by_value
    .group_segment_fixed_size: 0
    .kernarg_segment_align: 8
    .kernarg_segment_size: 84
    .language:       OpenCL C
    .language_version:
      - 2
      - 0
    .max_flat_workgroup_size: 256
    .name:           _ZN7rocprim17ROCPRIM_304000_NS6detail20lookback_scan_kernelILNS1_25lookback_scan_determinismE0ELb1ENS1_19wrapped_scan_configINS0_14default_configElEEN6hipcub22TransformInputIteratorIbN2at4cuda3cub12_GLOBAL__N_111CountMaskOpEPKhlEEPlNSC_5SumOpIlEEllNS1_19lookback_scan_stateIlLb1ELb1EEEEEvT2_T3_mT5_T4_T7_jPT6_SS_bb
    .private_segment_fixed_size: 0
    .sgpr_count:     6
    .sgpr_spill_count: 0
    .symbol:         _ZN7rocprim17ROCPRIM_304000_NS6detail20lookback_scan_kernelILNS1_25lookback_scan_determinismE0ELb1ENS1_19wrapped_scan_configINS0_14default_configElEEN6hipcub22TransformInputIteratorIbN2at4cuda3cub12_GLOBAL__N_111CountMaskOpEPKhlEEPlNSC_5SumOpIlEEllNS1_19lookback_scan_stateIlLb1ELb1EEEEEvT2_T3_mT5_T4_T7_jPT6_SS_bb.kd
    .uniform_work_group_size: 1
    .uses_dynamic_stack: false
    .vgpr_count:     0
    .vgpr_spill_count: 0
    .wavefront_size: 64
  - .agpr_count:     0
    .args:
      - .offset:         0
        .size:           16
        .value_kind:     by_value
      - .address_space:  global
        .offset:         16
        .size:           8
        .value_kind:     global_buffer
      - .offset:         24
        .size:           8
        .value_kind:     by_value
      - .offset:         32
        .size:           8
        .value_kind:     by_value
      - .offset:         40
        .size:           1
        .value_kind:     by_value
      - .address_space:  global
        .offset:         48
        .size:           8
        .value_kind:     global_buffer
      - .offset:         56
        .size:           4
        .value_kind:     by_value
      - .address_space:  global
        .offset:         64
        .size:           8
        .value_kind:     global_buffer
      - .address_space:  global
        .offset:         72
        .size:           8
        .value_kind:     global_buffer
      - .offset:         80
        .size:           1
        .value_kind:     by_value
      - .offset:         81
        .size:           1
        .value_kind:     by_value
    .group_segment_fixed_size: 30720
    .kernarg_segment_align: 8
    .kernarg_segment_size: 84
    .language:       OpenCL C
    .language_version:
      - 2
      - 0
    .max_flat_workgroup_size: 256
    .name:           _ZN7rocprim17ROCPRIM_304000_NS6detail20lookback_scan_kernelILNS1_25lookback_scan_determinismE0ELb1ENS1_19wrapped_scan_configINS0_14default_configElEEN6hipcub22TransformInputIteratorIbN2at4cuda3cub12_GLOBAL__N_111CountMaskOpEPKhlEEPlNSC_5SumOpIlEEllNS1_19lookback_scan_stateIlLb0ELb1EEEEEvT2_T3_mT5_T4_T7_jPT6_SS_bb
    .private_segment_fixed_size: 0
    .sgpr_count:     36
    .sgpr_spill_count: 0
    .symbol:         _ZN7rocprim17ROCPRIM_304000_NS6detail20lookback_scan_kernelILNS1_25lookback_scan_determinismE0ELb1ENS1_19wrapped_scan_configINS0_14default_configElEEN6hipcub22TransformInputIteratorIbN2at4cuda3cub12_GLOBAL__N_111CountMaskOpEPKhlEEPlNSC_5SumOpIlEEllNS1_19lookback_scan_stateIlLb0ELb1EEEEEvT2_T3_mT5_T4_T7_jPT6_SS_bb.kd
    .uniform_work_group_size: 1
    .uses_dynamic_stack: false
    .vgpr_count:     72
    .vgpr_spill_count: 0
    .wavefront_size: 64
  - .agpr_count:     0
    .args:
      - .offset:         0
        .size:           16
        .value_kind:     by_value
      - .offset:         16
        .size:           8
        .value_kind:     by_value
      - .offset:         24
        .size:           8
        .value_kind:     by_value
      - .address_space:  global
        .offset:         32
        .size:           8
        .value_kind:     global_buffer
      - .offset:         40
        .size:           1
        .value_kind:     by_value
    .group_segment_fixed_size: 30720
    .kernarg_segment_align: 8
    .kernarg_segment_size: 44
    .language:       OpenCL C
    .language_version:
      - 2
      - 0
    .max_flat_workgroup_size: 256
    .name:           _ZN7rocprim17ROCPRIM_304000_NS6detail18single_scan_kernelILb1ENS1_19wrapped_scan_configINS0_14default_configElEEN6hipcub22TransformInputIteratorIbN2at4cuda3cub12_GLOBAL__N_111CountMaskOpEPKhlEEPlNSB_5SumOpIlEEllEEvT1_mT4_T2_T3_
    .private_segment_fixed_size: 0
    .sgpr_count:     46
    .sgpr_spill_count: 0
    .symbol:         _ZN7rocprim17ROCPRIM_304000_NS6detail18single_scan_kernelILb1ENS1_19wrapped_scan_configINS0_14default_configElEEN6hipcub22TransformInputIteratorIbN2at4cuda3cub12_GLOBAL__N_111CountMaskOpEPKhlEEPlNSB_5SumOpIlEEllEEvT1_mT4_T2_T3_.kd
    .uniform_work_group_size: 1
    .uses_dynamic_stack: false
    .vgpr_count:     52
    .vgpr_spill_count: 0
    .wavefront_size: 64
amdhsa.target:   amdgcn-amd-amdhsa--gfx942
amdhsa.version:
  - 1
  - 2
...

	.end_amdgpu_metadata
